;; amdgpu-corpus repo=ROCm/rocFFT kind=compiled arch=gfx950 opt=O3
	.text
	.amdgcn_target "amdgcn-amd-amdhsa--gfx950"
	.amdhsa_code_object_version 6
	.protected	bluestein_single_fwd_len195_dim1_sp_op_CI_CI ; -- Begin function bluestein_single_fwd_len195_dim1_sp_op_CI_CI
	.globl	bluestein_single_fwd_len195_dim1_sp_op_CI_CI
	.p2align	8
	.type	bluestein_single_fwd_len195_dim1_sp_op_CI_CI,@function
bluestein_single_fwd_len195_dim1_sp_op_CI_CI: ; @bluestein_single_fwd_len195_dim1_sp_op_CI_CI
; %bb.0:
	s_load_dwordx4 s[12:15], s[0:1], 0x28
	v_mul_u32_u24_e32 v1, 0x13b2, v0
	v_lshrrev_b32_e32 v4, 16, v1
	v_mov_b32_e32 v85, 0
	v_lshl_add_u32 v100, s2, 2, v4
	v_mov_b32_e32 v101, v85
	s_waitcnt lgkmcnt(0)
	v_cmp_gt_u64_e32 vcc, s[12:13], v[100:101]
	s_and_saveexec_b64 s[2:3], vcc
	s_cbranch_execz .LBB0_15
; %bb.1:
	s_load_dwordx4 s[4:7], s[0:1], 0x18
	s_load_dwordx2 s[12:13], s[0:1], 0x0
	v_mul_lo_u16_e32 v1, 13, v4
	v_sub_u16_e32 v84, v0, v1
	v_mov_b32_e32 v2, s14
	s_waitcnt lgkmcnt(0)
	s_load_dwordx4 s[8:11], s[4:5], 0x0
	v_mov_b32_e32 v3, s15
	v_mov_b32_e32 v5, 0x78
	v_and_b32_e32 v4, 3, v4
	v_mul_u32_u24_e32 v4, 0xc3, v4
	s_waitcnt lgkmcnt(0)
	v_mad_u64_u32 v[0:1], s[2:3], s10, v100, 0
	v_mov_b32_e32 v6, v1
	v_mad_u64_u32 v[6:7], s[2:3], s11, v100, v[6:7]
	v_mov_b32_e32 v1, v6
	;; [unrolled: 2-line block ×4, first 2 shown]
	v_lshl_add_u64 v[0:1], v[0:1], 3, v[2:3]
	v_lshl_add_u64 v[2:3], v[6:7], 3, v[0:1]
	global_load_dwordx2 v[6:7], v[2:3], off
	v_mad_u64_u32 v[2:3], s[2:3], s8, v5, v[2:3]
	s_mul_i32 s4, s9, 0x78
	v_add_u32_e32 v3, s4, v3
	global_load_dwordx2 v[10:11], v[2:3], off
	v_mad_u64_u32 v[2:3], s[2:3], s8, v5, v[2:3]
	v_add_u32_e32 v3, s4, v3
	v_mad_u64_u32 v[12:13], s[2:3], s8, v5, v[2:3]
	v_lshlrev_b32_e32 v8, 3, v84
	v_add_u32_e32 v13, s4, v13
	global_load_dwordx2 v[58:59], v8, s[12:13]
	global_load_dwordx2 v[56:57], v8, s[12:13] offset:120
	global_load_dwordx2 v[54:55], v8, s[12:13] offset:240
	;; [unrolled: 1-line block ×3, first 2 shown]
	global_load_dwordx2 v[14:15], v[2:3], off
	v_mad_u64_u32 v[2:3], s[2:3], s8, v5, v[12:13]
	v_add_u32_e32 v3, s4, v3
	global_load_dwordx2 v[16:17], v[12:13], off
	global_load_dwordx2 v[18:19], v[2:3], off
	v_mad_u64_u32 v[2:3], s[2:3], s8, v5, v[2:3]
	v_add_u32_e32 v3, s4, v3
	global_load_dwordx2 v[12:13], v[2:3], off
	global_load_dwordx2 v[52:53], v8, s[12:13] offset:480
	v_mad_u64_u32 v[2:3], s[2:3], s8, v5, v[2:3]
	v_add_u32_e32 v3, s4, v3
	global_load_dwordx2 v[50:51], v8, s[12:13] offset:600
	global_load_dwordx2 v[20:21], v[2:3], off
	v_mad_u64_u32 v[2:3], s[2:3], s8, v5, v[2:3]
	v_add_u32_e32 v3, s4, v3
	global_load_dwordx2 v[46:47], v8, s[12:13] offset:720
	global_load_dwordx2 v[22:23], v[2:3], off
	global_load_dwordx2 v[44:45], v8, s[12:13] offset:840
	v_mad_u64_u32 v[2:3], s[2:3], s8, v5, v[2:3]
	v_add_u32_e32 v3, s4, v3
	global_load_dwordx2 v[24:25], v[2:3], off
	v_mad_u64_u32 v[2:3], s[2:3], s8, v5, v[2:3]
	v_add_u32_e32 v3, s4, v3
	global_load_dwordx2 v[42:43], v8, s[12:13] offset:960
	global_load_dwordx2 v[26:27], v[2:3], off
	global_load_dwordx2 v[40:41], v8, s[12:13] offset:1080
	v_mad_u64_u32 v[2:3], s[2:3], s8, v5, v[2:3]
	v_add_u32_e32 v3, s4, v3
	global_load_dwordx2 v[28:29], v[2:3], off
	global_load_dwordx2 v[38:39], v8, s[12:13] offset:1200
	v_mad_u64_u32 v[2:3], s[2:3], s8, v5, v[2:3]
	v_add_u32_e32 v3, s4, v3
	;; [unrolled: 4-line block ×3, first 2 shown]
	global_load_dwordx2 v[34:35], v8, s[12:13] offset:1440
	global_load_dwordx2 v[32:33], v[2:3], off
	v_lshlrev_b32_e32 v98, 3, v4
	v_add_u32_e32 v101, v98, v8
	s_load_dwordx2 s[2:3], s[0:1], 0x38
	v_mov_b32_e32 v9, v85
	s_load_dwordx4 s[4:7], s[6:7], 0x0
	v_lshl_add_u64 v[86:87], s[12:13], 0, v[8:9]
	v_cmp_gt_u16_e32 vcc, 2, v84
	s_waitcnt vmcnt(23)
	v_accvgpr_write_b32 a26, v58
	v_mul_f32_e32 v4, v7, v59
	v_mul_f32_e32 v5, v6, v59
	v_fmac_f32_e32 v4, v6, v58
	v_fma_f32 v5, v7, v58, -v5
	s_waitcnt vmcnt(22)
	v_mul_f32_e32 v6, v11, v57
	v_mul_f32_e32 v7, v10, v57
	v_fmac_f32_e32 v6, v10, v56
	v_fma_f32 v7, v11, v56, -v7
	ds_write2_b64 v101, v[4:5], v[6:7] offset1:15
	s_waitcnt vmcnt(19)
	v_mul_f32_e32 v4, v15, v55
	v_mul_f32_e32 v5, v14, v55
	s_waitcnt vmcnt(18)
	v_mul_f32_e32 v6, v17, v49
	v_mul_f32_e32 v7, v16, v49
	v_fmac_f32_e32 v4, v14, v54
	v_fma_f32 v5, v15, v54, -v5
	v_fmac_f32_e32 v6, v16, v48
	v_fma_f32 v7, v17, v48, -v7
	ds_write2_b64 v101, v[4:5], v[6:7] offset0:30 offset1:45
	s_waitcnt vmcnt(15)
	v_mul_f32_e32 v4, v19, v53
	v_mul_f32_e32 v5, v18, v53
	s_waitcnt vmcnt(14)
	v_mul_f32_e32 v6, v13, v51
	v_mul_f32_e32 v7, v12, v51
	v_fmac_f32_e32 v4, v18, v52
	v_fma_f32 v5, v19, v52, -v5
	v_fmac_f32_e32 v6, v12, v50
	v_fma_f32 v7, v13, v50, -v7
	ds_write2_b64 v101, v[4:5], v[6:7] offset0:60 offset1:75
	;; [unrolled: 11-line block ×5, first 2 shown]
	s_waitcnt vmcnt(0)
	v_mul_f32_e32 v4, v33, v35
	v_mul_f32_e32 v5, v32, v35
	v_fmac_f32_e32 v4, v32, v34
	v_fma_f32 v5, v33, v34, -v5
	ds_write_b64 v101, v[4:5] offset:1440
	v_or_b32_e32 v4, 28, v84
	v_accvgpr_write_b32 a24, v56
	v_accvgpr_write_b32 a22, v54
	v_accvgpr_write_b32 a16, v48
	v_accvgpr_write_b32 a20, v52
	v_accvgpr_write_b32 a18, v50
	v_accvgpr_write_b32 a14, v46
	v_accvgpr_write_b32 a12, v44
	v_accvgpr_write_b32 a10, v42
	v_accvgpr_write_b32 a8, v40
	v_accvgpr_write_b32 a6, v38
	v_accvgpr_write_b32 a4, v36
	v_accvgpr_write_b32 a2, v34
	v_accvgpr_write_b32 a1, v4
	v_or_b32_e32 v4, 58, v84
	v_accvgpr_write_b32 a27, v59
	v_accvgpr_write_b32 a25, v57
	v_accvgpr_write_b32 a23, v55
	v_accvgpr_write_b32 a17, v49
	v_accvgpr_write_b32 a21, v53
	v_accvgpr_write_b32 a19, v51
	v_accvgpr_write_b32 a15, v47
	v_accvgpr_write_b32 a13, v45
	v_accvgpr_write_b32 a11, v43
	v_accvgpr_write_b32 a9, v41
	v_accvgpr_write_b32 a7, v39
	v_accvgpr_write_b32 a5, v37
	v_accvgpr_write_b32 a3, v35
	v_accvgpr_write_b32 a0, v4
	s_and_saveexec_b64 s[10:11], vcc
	s_cbranch_execz .LBB0_3
; %bb.2:
	v_mov_b32_e32 v4, 0xfffffac8
	v_mad_u64_u32 v[2:3], s[14:15], s8, v4, v[2:3]
	s_mul_i32 s14, s9, 0xfffffac8
	s_sub_i32 s14, s14, s8
	v_accvgpr_read_b32 v9, a1
	v_add_u32_e32 v3, s14, v3
	v_mad_u64_u32 v[6:7], s[14:15], s8, v9, 0
	v_mov_b32_e32 v52, 0xf0
	global_load_dwordx2 v[4:5], v[2:3], off
	v_mov_b32_e32 v8, v7
	v_mad_u64_u32 v[2:3], s[14:15], s8, v52, v[2:3]
	s_mul_i32 s16, s9, 0xf0
	v_accvgpr_read_b32 v13, a0
	v_mad_u64_u32 v[8:9], s[14:15], s9, v9, v[8:9]
	v_add_u32_e32 v3, s16, v3
	v_mad_u64_u32 v[10:11], s[14:15], s8, v13, 0
	v_mov_b32_e32 v7, v8
	global_load_dwordx2 v[8:9], v[2:3], off
	v_mov_b32_e32 v12, v11
	v_mad_u64_u32 v[2:3], s[14:15], s8, v52, v[2:3]
	v_or_b32_e32 v25, 0x58, v84
	v_mad_u64_u32 v[12:13], s[14:15], s9, v13, v[12:13]
	v_add_u32_e32 v3, s16, v3
	v_mad_u64_u32 v[22:23], s[14:15], s8, v25, 0
	v_mov_b32_e32 v11, v12
	global_load_dwordx2 v[12:13], v[86:87], off offset:104
	global_load_dwordx2 v[14:15], v[86:87], off offset:224
	;; [unrolled: 1-line block ×4, first 2 shown]
	global_load_dwordx2 v[20:21], v[2:3], off
	v_mov_b32_e32 v24, v23
	v_mad_u64_u32 v[2:3], s[14:15], s8, v52, v[2:3]
	v_lshl_add_u64 v[6:7], v[6:7], 3, v[0:1]
	v_mad_u64_u32 v[24:25], s[14:15], s9, v25, v[24:25]
	v_add_u32_e32 v3, s16, v3
	v_or_b32_e32 v29, 0x76, v84
	v_mov_b32_e32 v23, v24
	global_load_dwordx2 v[24:25], v[2:3], off
	global_load_dwordx2 v[26:27], v[6:7], off
	v_mad_u64_u32 v[6:7], s[14:15], s8, v29, 0
	v_mov_b32_e32 v28, v7
	v_mad_u64_u32 v[28:29], s[14:15], s9, v29, v[28:29]
	v_lshl_add_u64 v[10:11], v[10:11], 3, v[0:1]
	v_lshl_add_u64 v[22:23], v[22:23], 3, v[0:1]
	v_mov_b32_e32 v7, v28
	v_lshl_add_u64 v[6:7], v[6:7], 3, v[0:1]
	global_load_dwordx2 v[28:29], v[10:11], off
	global_load_dwordx2 v[30:31], v[22:23], off
	;; [unrolled: 1-line block ×3, first 2 shown]
	global_load_dwordx2 v[34:35], v[86:87], off offset:584
	global_load_dwordx2 v[36:37], v[86:87], off offset:704
	;; [unrolled: 1-line block ×4, first 2 shown]
	v_or_b32_e32 v23, 0x94, v84
	v_mad_u64_u32 v[10:11], s[14:15], s8, v23, 0
	v_mad_u64_u32 v[2:3], s[14:15], s8, v52, v[2:3]
	v_mov_b32_e32 v22, v11
	v_or_b32_e32 v51, 0xb2, v84
	v_add_u32_e32 v3, s16, v3
	v_mad_u64_u32 v[22:23], s[14:15], s9, v23, v[22:23]
	v_mad_u64_u32 v[48:49], s[14:15], s8, v51, 0
	global_load_dwordx2 v[6:7], v[2:3], off
	v_mov_b32_e32 v11, v22
	v_mad_u64_u32 v[2:3], s[14:15], s8, v52, v[2:3]
	v_mov_b32_e32 v50, v49
	v_lshl_add_u64 v[10:11], v[10:11], 3, v[0:1]
	v_add_u32_e32 v3, s16, v3
	v_mad_u64_u32 v[50:51], s[14:15], s9, v51, v[50:51]
	global_load_dwordx2 v[22:23], v[2:3], off
	global_load_dwordx2 v[42:43], v[86:87], off offset:1064
	global_load_dwordx2 v[44:45], v[86:87], off offset:1184
	;; [unrolled: 1-line block ×3, first 2 shown]
	v_mov_b32_e32 v49, v50
	global_load_dwordx2 v[10:11], v[10:11], off
	v_lshl_add_u64 v[0:1], v[48:49], 3, v[0:1]
	global_load_dwordx2 v[48:49], v[0:1], off
	global_load_dwordx2 v[50:51], v[86:87], off offset:1424
	v_mad_u64_u32 v[0:1], s[8:9], s8, v52, v[2:3]
	v_add_u32_e32 v1, s16, v1
	global_load_dwordx2 v[2:3], v[0:1], off
	global_load_dwordx2 v[52:53], v[86:87], off offset:1544
	s_waitcnt vmcnt(23)
	v_mul_f32_e32 v0, v5, v13
	v_mul_f32_e32 v1, v4, v13
	v_fmac_f32_e32 v0, v4, v12
	v_fma_f32 v1, v5, v12, -v1
	s_waitcnt vmcnt(17)
	v_mul_f32_e32 v4, v27, v15
	v_mul_f32_e32 v5, v26, v15
	v_fmac_f32_e32 v4, v26, v14
	v_fma_f32 v5, v27, v14, -v5
	ds_write2_b64 v101, v[0:1], v[4:5] offset0:13 offset1:28
	v_mul_f32_e32 v0, v9, v17
	v_mul_f32_e32 v1, v8, v17
	s_waitcnt vmcnt(16)
	v_mul_f32_e32 v4, v29, v19
	v_mul_f32_e32 v5, v28, v19
	v_fmac_f32_e32 v0, v8, v16
	v_fma_f32 v1, v9, v16, -v1
	v_fmac_f32_e32 v4, v28, v18
	v_fma_f32 v5, v29, v18, -v5
	ds_write2_b64 v101, v[0:1], v[4:5] offset0:43 offset1:58
	s_waitcnt vmcnt(13)
	v_mul_f32_e32 v0, v21, v35
	v_mul_f32_e32 v1, v20, v35
	s_waitcnt vmcnt(12)
	v_mul_f32_e32 v4, v31, v37
	v_mul_f32_e32 v5, v30, v37
	v_fmac_f32_e32 v0, v20, v34
	v_fma_f32 v1, v21, v34, -v1
	v_fmac_f32_e32 v4, v30, v36
	v_fma_f32 v5, v31, v36, -v5
	ds_write2_b64 v101, v[0:1], v[4:5] offset0:73 offset1:88
	s_waitcnt vmcnt(11)
	;; [unrolled: 11-line block ×3, first 2 shown]
	v_mul_f32_e32 v0, v7, v43
	v_mul_f32_e32 v1, v6, v43
	s_waitcnt vmcnt(4)
	v_mul_f32_e32 v4, v11, v45
	v_mul_f32_e32 v5, v10, v45
	v_fmac_f32_e32 v0, v6, v42
	v_fma_f32 v1, v7, v42, -v1
	v_fmac_f32_e32 v4, v10, v44
	v_fma_f32 v5, v11, v44, -v5
	ds_write2_b64 v101, v[0:1], v[4:5] offset0:133 offset1:148
	v_mul_f32_e32 v0, v23, v47
	v_mul_f32_e32 v1, v22, v47
	s_waitcnt vmcnt(2)
	v_mul_f32_e32 v4, v49, v51
	v_mul_f32_e32 v5, v48, v51
	v_fmac_f32_e32 v0, v22, v46
	v_fma_f32 v1, v23, v46, -v1
	v_fmac_f32_e32 v4, v48, v50
	v_fma_f32 v5, v49, v50, -v5
	ds_write2_b64 v101, v[0:1], v[4:5] offset0:163 offset1:178
	s_waitcnt vmcnt(0)
	v_mul_f32_e32 v0, v3, v53
	v_mul_f32_e32 v1, v2, v53
	v_fmac_f32_e32 v0, v2, v52
	v_fma_f32 v1, v3, v52, -v1
	ds_write_b64 v101, v[0:1] offset:1544
.LBB0_3:
	s_or_b64 exec, exec, s[10:11]
	s_waitcnt lgkmcnt(0)
	; wave barrier
	s_waitcnt lgkmcnt(0)
	ds_read2_b64 v[44:47], v101 offset1:15
	ds_read2_b64 v[52:55], v101 offset0:30 offset1:45
	ds_read2_b64 v[64:67], v101 offset0:60 offset1:75
	;; [unrolled: 1-line block ×5, first 2 shown]
	ds_read_b64 v[70:71], v101 offset:1440
	s_load_dwordx2 s[0:1], s[0:1], 0x8
	v_mov_b64_e32 v[20:21], 0
                                        ; implicit-def: $vgpr26
                                        ; implicit-def: $vgpr32
                                        ; implicit-def: $vgpr30
                                        ; implicit-def: $vgpr40
                                        ; implicit-def: $vgpr38
                                        ; implicit-def: $vgpr68
	s_and_saveexec_b64 s[8:9], vcc
	s_cbranch_execz .LBB0_5
; %bb.4:
	ds_read2_b64 v[20:23], v101 offset0:13 offset1:28
	ds_read2_b64 v[36:39], v101 offset0:43 offset1:58
	;; [unrolled: 1-line block ×6, first 2 shown]
	ds_read_b64 v[68:69], v101 offset:1544
.LBB0_5:
	s_or_b64 exec, exec, s[8:9]
	s_waitcnt lgkmcnt(0)
	v_pk_add_f32 v[118:119], v[22:23], v[68:69] neg_lo:[0,1] neg_hi:[0,1]
	s_mov_b32 s8, 0xbf52af12
	v_pk_add_f32 v[74:75], v[68:69], v[22:23]
	v_pk_add_f32 v[116:117], v[36:37], v[42:43] neg_lo:[0,1] neg_hi:[0,1]
	s_mov_b32 s24, 0x3f116cb1
	v_pk_mul_f32 v[0:1], v[118:119], s[8:9] op_sel_hi:[1,0]
	s_mov_b32 s10, 0xbf6f5d39
	v_pk_add_f32 v[72:73], v[42:43], v[36:37]
	v_pk_add_f32 v[82:83], v[38:39], v[40:41] neg_lo:[0,1] neg_hi:[0,1]
	v_pk_fma_f32 v[4:5], v[74:75], s[24:25], v[0:1] op_sel:[0,0,1] op_sel_hi:[1,0,0]
	v_pk_fma_f32 v[0:1], v[74:75], s[24:25], v[0:1] op_sel:[0,0,1] op_sel_hi:[1,0,0] neg_lo:[0,0,1] neg_hi:[0,0,1]
	s_mov_b32 s22, 0xbeb58ec6
	v_pk_mul_f32 v[2:3], v[116:117], s[10:11] op_sel:[1,0] op_sel_hi:[0,0]
	s_mov_b32 s14, 0xbe750f2a
	v_pk_add_f32 v[78:79], v[40:41], v[38:39]
	v_mov_b32_e32 v7, v1
	v_pk_fma_f32 v[8:9], v[72:73], s[22:23], v[2:3] op_sel_hi:[1,0,1]
	v_pk_fma_f32 v[2:3], v[72:73], s[22:23], v[2:3] op_sel_hi:[1,0,1] neg_lo:[0,0,1] neg_hi:[0,0,1]
	s_mov_b32 s26, 0xbf788fa5
	v_pk_mul_f32 v[14:15], v[82:83], s[14:15] op_sel:[1,0] op_sel_hi:[0,0]
	v_mov_b32_e32 v1, v5
	v_pk_add_f32 v[80:81], v[28:29], v[34:35] neg_lo:[0,1] neg_hi:[0,1]
	v_mov_b32_e32 v11, v3
	v_pk_fma_f32 v[12:13], v[78:79], s[26:27], v[14:15] op_sel_hi:[1,0,1]
	v_pk_fma_f32 v[16:17], v[78:79], s[26:27], v[14:15] op_sel_hi:[1,0,1] neg_lo:[0,0,1] neg_hi:[0,0,1]
	s_mov_b32 s16, 0x3f29c268
	v_pk_add_f32 v[0:1], v[0:1], v[20:21]
	v_mov_b32_e32 v3, v9
	v_pk_add_f32 v[76:77], v[34:35], v[28:29]
	v_mov_b32_e32 v15, v17
	s_mov_b32 s28, 0xbf3f9e67
	v_pk_mul_f32 v[18:19], v[80:81], s[16:17] op_sel:[1,0] op_sel_hi:[0,0]
	v_pk_add_f32 v[0:1], v[2:3], v[0:1]
	v_mov_b32_e32 v17, v13
	v_pk_add_f32 v[0:1], v[16:17], v[0:1]
	v_pk_fma_f32 v[16:17], v[76:77], s[28:29], v[18:19] op_sel_hi:[1,0,1] neg_lo:[0,0,1] neg_hi:[0,0,1]
	v_pk_fma_f32 v[18:19], v[76:77], s[28:29], v[18:19] op_sel_hi:[1,0,1]
	v_mov_b32_e32 v2, v16
	v_mov_b32_e32 v3, v19
	v_pk_add_f32 v[120:121], v[32:33], v[30:31]
	s_mov_b32 s38, 0x3df6dbef
	v_pk_add_f32 v[0:1], v[2:3], v[0:1]
	s_mov_b32 s18, 0x3f7e222b
	v_pk_add_f32 v[122:123], v[30:31], v[32:33] neg_lo:[0,1] neg_hi:[0,1]
	v_pk_mul_f32 v[2:3], v[120:121], s[38:39] op_sel_hi:[1,0]
	s_mov_b32 s20, 0xbf7e222b
	v_pk_fma_f32 v[124:125], v[122:123], s[18:19], v[2:3] op_sel:[1,0,0] op_sel_hi:[0,0,1] neg_lo:[1,0,0] neg_hi:[1,0,0]
	v_pk_fma_f32 v[126:127], v[122:123], s[18:19], v[2:3] op_sel:[1,0,0] op_sel_hi:[0,0,1]
	v_mov_b32_e32 v2, v124
	v_mov_b32_e32 v3, v127
	v_pk_mul_f32 v[130:131], v[118:119], s[20:21] op_sel_hi:[1,0]
	v_pk_add_f32 v[0:1], v[2:3], v[0:1]
	v_pk_mul_f32 v[2:3], v[116:117], s[14:15] op_sel:[1,0] op_sel_hi:[0,0]
	v_pk_fma_f32 v[132:133], v[74:75], s[38:39], v[130:131] op_sel:[0,0,1] op_sel_hi:[1,0,0] neg_lo:[0,0,1] neg_hi:[0,0,1]
	v_pk_fma_f32 v[130:131], v[74:75], s[38:39], v[130:131] op_sel:[0,0,1] op_sel_hi:[1,0,0]
	v_pk_fma_f32 v[128:129], v[72:73], s[26:27], v[2:3] op_sel_hi:[1,0,1]
	v_pk_fma_f32 v[2:3], v[72:73], s[26:27], v[2:3] op_sel_hi:[1,0,1] neg_lo:[0,0,1] neg_hi:[0,0,1]
	v_mov_b32_e32 v134, v132
	v_mov_b32_e32 v135, v131
	v_pk_add_f32 v[134:135], v[134:135], v[20:21]
	v_mov_b32_e32 v5, v3
	v_mov_b32_e32 v3, v129
	s_mov_b32 s36, 0x3f6f5d39
	v_pk_add_f32 v[2:3], v[2:3], v[134:135]
	v_pk_mul_f32 v[134:135], v[82:83], s[36:37] op_sel:[1,0] op_sel_hi:[0,0]
	v_pk_fma_f32 v[136:137], v[78:79], s[22:23], v[134:135] op_sel_hi:[1,0,1]
	v_pk_fma_f32 v[134:135], v[78:79], s[22:23], v[134:135] op_sel_hi:[1,0,1] neg_lo:[0,0,1] neg_hi:[0,0,1]
	v_mov_b32_e32 v6, v4
	v_mov_b32_e32 v9, v135
	v_mov_b32_e32 v135, v137
	s_mov_b32 s34, 0x3eedf032
	v_mov_b32_e32 v10, v8
	v_pk_add_f32 v[6:7], v[6:7], v[20:21]
	v_mov_b32_e32 v131, v133
	v_pk_add_f32 v[2:3], v[134:135], v[2:3]
	s_mov_b32 s42, 0x3f62ad3f
	v_pk_mul_f32 v[134:135], v[80:81], s[34:35] op_sel:[1,0] op_sel_hi:[0,0]
	v_pk_add_f32 v[6:7], v[10:11], v[6:7]
	v_mov_b32_e32 v4, v128
	v_pk_add_f32 v[10:11], v[130:131], v[20:21]
	v_pk_fma_f32 v[138:139], v[76:77], s[42:43], v[134:135] op_sel_hi:[1,0,1]
	v_pk_fma_f32 v[134:135], v[76:77], s[42:43], v[134:135] op_sel_hi:[1,0,1] neg_lo:[0,0,1] neg_hi:[0,0,1]
	s_mov_b32 s30, 0xbf29c268
	v_mov_b32_e32 v8, v136
	v_pk_add_f32 v[4:5], v[4:5], v[10:11]
	v_mov_b32_e32 v13, v135
	v_mov_b32_e32 v14, v12
	;; [unrolled: 1-line block ×3, first 2 shown]
	v_pk_add_f32 v[4:5], v[8:9], v[4:5]
	v_pk_mul_f32 v[8:9], v[118:119], s[30:31] op_sel_hi:[1,0]
	v_pk_add_f32 v[6:7], v[14:15], v[6:7]
	v_mov_b32_e32 v19, v17
	v_pk_add_f32 v[4:5], v[12:13], v[4:5]
	v_pk_fma_f32 v[12:13], v[74:75], s[28:29], v[8:9] op_sel:[0,0,1] op_sel_hi:[1,0,0] neg_lo:[0,0,1] neg_hi:[0,0,1]
	v_pk_fma_f32 v[14:15], v[74:75], s[28:29], v[8:9] op_sel:[0,0,1] op_sel_hi:[1,0,0]
	v_pk_mul_f32 v[10:11], v[116:117], s[18:19] op_sel:[1,0] op_sel_hi:[0,0]
	v_pk_add_f32 v[6:7], v[18:19], v[6:7]
	v_mov_b32_e32 v8, v12
	v_mov_b32_e32 v9, v15
	v_pk_fma_f32 v[16:17], v[72:73], s[38:39], v[10:11] op_sel_hi:[1,0,1] neg_lo:[0,0,1] neg_hi:[0,0,1]
	v_pk_fma_f32 v[18:19], v[72:73], s[38:39], v[10:11] op_sel_hi:[1,0,1]
	v_mov_b32_e32 v10, v16
	v_mov_b32_e32 v11, v19
	v_pk_add_f32 v[8:9], v[8:9], v[20:21]
	v_mov_b32_e32 v135, v139
	v_mov_b32_e32 v127, v125
	v_pk_add_f32 v[8:9], v[10:11], v[8:9]
	v_pk_mul_f32 v[10:11], v[82:83], s[8:9] op_sel:[1,0] op_sel_hi:[0,0]
	v_pk_add_f32 v[2:3], v[134:135], v[2:3]
	v_pk_mul_f32 v[134:135], v[122:123], s[8:9] op_sel:[1,0] op_sel_hi:[0,0]
	v_pk_add_f32 v[6:7], v[126:127], v[6:7]
	v_pk_fma_f32 v[124:125], v[78:79], s[24:25], v[10:11] op_sel_hi:[1,0,1] neg_lo:[0,0,1] neg_hi:[0,0,1]
	v_pk_fma_f32 v[126:127], v[78:79], s[24:25], v[10:11] op_sel_hi:[1,0,1]
	v_mov_b32_e32 v15, v13
	v_pk_fma_f32 v[140:141], v[120:121], s[24:25], v[134:135] op_sel_hi:[1,0,1]
	v_pk_fma_f32 v[134:135], v[120:121], s[24:25], v[134:135] op_sel_hi:[1,0,1] neg_lo:[0,0,1] neg_hi:[0,0,1]
	v_mov_b32_e32 v10, v124
	v_mov_b32_e32 v11, v127
	s_mov_b32 s40, 0x3e750f2a
	v_mov_b32_e32 v19, v17
	v_pk_add_f32 v[12:13], v[14:15], v[20:21]
	v_mov_b32_e32 v129, v135
	v_mov_b32_e32 v128, v140
	v_pk_add_f32 v[8:9], v[10:11], v[8:9]
	v_pk_mul_f32 v[10:11], v[80:81], s[40:41] op_sel:[1,0] op_sel_hi:[0,0]
	v_pk_add_f32 v[12:13], v[18:19], v[12:13]
	v_mov_b32_e32 v127, v125
	v_pk_mul_f32 v[16:17], v[118:119], s[14:15] op_sel_hi:[1,0]
	v_mov_b32_e32 v135, v141
	v_pk_add_f32 v[4:5], v[128:129], v[4:5]
	v_pk_fma_f32 v[128:129], v[76:77], s[26:27], v[10:11] op_sel_hi:[1,0,1] neg_lo:[0,0,1] neg_hi:[0,0,1]
	v_pk_fma_f32 v[130:131], v[76:77], s[26:27], v[10:11] op_sel_hi:[1,0,1]
	v_pk_add_f32 v[12:13], v[126:127], v[12:13]
	v_pk_fma_f32 v[18:19], v[74:75], s[26:27], v[16:17] op_sel:[0,0,1] op_sel_hi:[1,0,0] neg_lo:[0,0,1] neg_hi:[0,0,1]
	v_pk_fma_f32 v[16:17], v[74:75], s[26:27], v[16:17] op_sel:[0,0,1] op_sel_hi:[1,0,0]
	v_pk_mul_f32 v[126:127], v[116:117], s[34:35] op_sel:[1,0] op_sel_hi:[0,0]
	v_pk_add_f32 v[2:3], v[134:135], v[2:3]
	v_pk_add_f32 v[134:135], v[26:27], v[24:25]
	v_mov_b32_e32 v10, v128
	v_mov_b32_e32 v11, v131
	;; [unrolled: 1-line block ×4, first 2 shown]
	v_pk_fma_f32 v[128:129], v[72:73], s[42:43], v[126:127] op_sel_hi:[1,0,1] neg_lo:[0,0,1] neg_hi:[0,0,1]
	v_pk_fma_f32 v[126:127], v[72:73], s[42:43], v[126:127] op_sel_hi:[1,0,1]
	v_mov_b32_e32 v17, v19
	v_pk_add_f32 v[146:147], v[24:25], v[26:27] neg_lo:[0,1] neg_hi:[0,1]
	v_pk_mul_f32 v[142:143], v[134:135], s[42:43] op_sel_hi:[1,0]
	v_pk_add_f32 v[8:9], v[10:11], v[8:9]
	v_pk_mul_f32 v[10:11], v[118:119], s[10:11] op_sel_hi:[1,0]
	v_pk_add_f32 v[12:13], v[130:131], v[12:13]
	v_mov_b32_e32 v124, v18
	v_mov_b32_e32 v131, v127
	;; [unrolled: 1-line block ×3, first 2 shown]
	v_pk_add_f32 v[16:17], v[16:17], v[20:21]
	v_pk_mul_f32 v[18:19], v[82:83], s[30:31] op_sel:[1,0] op_sel_hi:[0,0]
	v_pk_fma_f32 v[144:145], v[146:147], s[34:35], v[142:143] op_sel:[1,0,0] op_sel_hi:[0,0,1] neg_lo:[1,0,0] neg_hi:[1,0,0]
	v_pk_fma_f32 v[142:143], v[146:147], s[34:35], v[142:143] op_sel:[1,0,0] op_sel_hi:[0,0,1]
	v_pk_fma_f32 v[132:133], v[74:75], s[22:23], v[10:11] op_sel:[0,0,1] op_sel_hi:[1,0,0] neg_lo:[0,0,1] neg_hi:[0,0,1]
	v_pk_fma_f32 v[136:137], v[74:75], s[22:23], v[10:11] op_sel:[0,0,1] op_sel_hi:[1,0,0]
	v_pk_mul_f32 v[138:139], v[116:117], s[16:17] op_sel:[1,0] op_sel_hi:[0,0]
	v_pk_add_f32 v[16:17], v[126:127], v[16:17]
	v_pk_fma_f32 v[126:127], v[78:79], s[28:29], v[18:19] op_sel_hi:[1,0,1] neg_lo:[0,0,1] neg_hi:[0,0,1]
	v_pk_fma_f32 v[18:19], v[78:79], s[28:29], v[18:19] op_sel_hi:[1,0,1]
	v_mov_b32_e32 v148, v144
	v_mov_b32_e32 v149, v143
	;; [unrolled: 1-line block ×5, first 2 shown]
	v_pk_fma_f32 v[140:141], v[72:73], s[28:29], v[138:139] op_sel_hi:[1,0,1] neg_lo:[0,0,1] neg_hi:[0,0,1]
	v_pk_fma_f32 v[138:139], v[72:73], s[28:29], v[138:139] op_sel_hi:[1,0,1]
	v_mov_b32_e32 v129, v19
	v_mov_b32_e32 v19, v127
	v_pk_add_f32 v[0:1], v[148:149], v[0:1]
	v_pk_mul_f32 v[148:149], v[146:147], s[30:31] op_sel:[1,0] op_sel_hi:[0,0]
	v_pk_add_f32 v[6:7], v[142:143], v[6:7]
	v_mov_b32_e32 v142, v140
	v_mov_b32_e32 v143, v139
	v_pk_add_f32 v[10:11], v[10:11], v[20:21]
	s_mov_b32 s44, 0x3f52af12
	v_mov_b32_e32 v130, v128
	v_pk_add_f32 v[124:125], v[124:125], v[20:21]
	v_pk_add_f32 v[16:17], v[18:19], v[16:17]
	v_pk_mul_f32 v[18:19], v[76:77], s[24:25] op_sel_hi:[1,0]
	v_pk_fma_f32 v[150:151], v[134:135], s[28:29], v[148:149] op_sel_hi:[1,0,1] neg_lo:[0,0,1] neg_hi:[0,0,1]
	v_pk_fma_f32 v[148:149], v[134:135], s[28:29], v[148:149] op_sel_hi:[1,0,1]
	v_pk_add_f32 v[10:11], v[142:143], v[10:11]
	v_pk_mul_f32 v[142:143], v[82:83], s[34:35] op_sel:[1,0] op_sel_hi:[0,0]
	v_pk_add_f32 v[124:125], v[130:131], v[124:125]
	v_mov_b32_e32 v128, v126
	v_pk_fma_f32 v[126:127], v[80:81], s[44:45], v[18:19] op_sel:[1,0,0] op_sel_hi:[0,0,1] neg_lo:[1,0,0] neg_hi:[1,0,0]
	v_pk_fma_f32 v[18:19], v[80:81], s[44:45], v[18:19] op_sel:[1,0,0] op_sel_hi:[0,0,1]
	v_mov_b32_e32 v153, v149
	v_mov_b32_e32 v149, v151
	v_pk_fma_f32 v[144:145], v[78:79], s[42:43], v[142:143] op_sel_hi:[1,0,1]
	v_pk_fma_f32 v[142:143], v[78:79], s[42:43], v[142:143] op_sel_hi:[1,0,1] neg_lo:[0,0,1] neg_hi:[0,0,1]
	v_pk_add_f32 v[124:125], v[128:129], v[124:125]
	v_mov_b32_e32 v129, v127
	v_mov_b32_e32 v127, v19
	v_pk_add_f32 v[4:5], v[148:149], v[4:5]
	v_mov_b32_e32 v149, v143
	v_mov_b32_e32 v143, v145
	;; [unrolled: 1-line block ×3, first 2 shown]
	v_pk_add_f32 v[18:19], v[126:127], v[124:125]
	v_pk_mul_f32 v[124:125], v[120:121], s[22:23] op_sel_hi:[1,0]
	v_pk_add_f32 v[10:11], v[142:143], v[10:11]
	v_pk_mul_f32 v[142:143], v[80:81], s[20:21] op_sel:[1,0] op_sel_hi:[0,0]
	v_pk_fma_f32 v[126:127], v[122:123], s[10:11], v[124:125] op_sel:[1,0,0] op_sel_hi:[0,0,1] neg_lo:[1,0,0] neg_hi:[1,0,0]
	v_pk_fma_f32 v[124:125], v[122:123], s[10:11], v[124:125] op_sel:[1,0,0] op_sel_hi:[0,0,1]
	v_mov_b32_e32 v152, v150
	v_pk_fma_f32 v[150:151], v[76:77], s[38:39], v[142:143] op_sel_hi:[1,0,1]
	v_pk_fma_f32 v[142:143], v[76:77], s[38:39], v[142:143] op_sel_hi:[1,0,1] neg_lo:[0,0,1] neg_hi:[0,0,1]
	v_pk_add_f32 v[16:17], v[128:129], v[16:17]
	v_mov_b32_e32 v129, v125
	v_mov_b32_e32 v125, v127
	;; [unrolled: 1-line block ×5, first 2 shown]
	v_pk_add_f32 v[124:125], v[124:125], v[16:17]
	v_pk_mul_f32 v[16:17], v[146:147], s[18:19] op_sel:[1,0] op_sel_hi:[0,0]
	v_pk_add_f32 v[10:11], v[142:143], v[10:11]
	v_pk_mul_f32 v[142:143], v[122:123], s[40:41] op_sel:[1,0] op_sel_hi:[0,0]
	v_pk_add_f32 v[18:19], v[128:129], v[18:19]
	v_pk_fma_f32 v[126:127], v[134:135], s[38:39], v[16:17] op_sel_hi:[1,0,1] neg_lo:[0,0,1] neg_hi:[0,0,1]
	v_pk_fma_f32 v[128:129], v[134:135], s[38:39], v[16:17] op_sel_hi:[1,0,1]
	v_pk_add_f32 v[2:3], v[152:153], v[2:3]
	v_pk_fma_f32 v[152:153], v[120:121], s[26:27], v[142:143] op_sel_hi:[1,0,1] neg_lo:[0,0,1] neg_hi:[0,0,1]
	v_pk_fma_f32 v[142:143], v[120:121], s[26:27], v[142:143] op_sel_hi:[1,0,1]
	v_mov_b32_e32 v16, v126
	v_mov_b32_e32 v17, v129
	;; [unrolled: 1-line block ×6, first 2 shown]
	v_pk_add_f32 v[16:17], v[16:17], v[18:19]
	v_pk_add_f32 v[18:19], v[128:129], v[124:125]
	;; [unrolled: 1-line block ×4, first 2 shown]
	v_pk_mul_f32 v[154:155], v[120:121], s[42:43] op_sel_hi:[1,0]
	v_mov_b32_e32 v139, v141
	v_pk_add_f32 v[14:15], v[136:137], v[20:21]
	v_pk_add_f32 v[124:125], v[124:125], v[52:53]
	v_pk_fma_f32 v[156:157], v[122:123], s[34:35], v[154:155] op_sel:[1,0,0] op_sel_hi:[0,0,1] neg_lo:[1,0,0] neg_hi:[1,0,0]
	v_pk_fma_f32 v[154:155], v[122:123], s[34:35], v[154:155] op_sel:[1,0,0] op_sel_hi:[0,0,1]
	v_mov_b32_e32 v148, v144
	v_pk_add_f32 v[14:15], v[138:139], v[14:15]
	v_pk_add_f32 v[124:125], v[124:125], v[54:55]
	v_mov_b32_e32 v158, v156
	v_mov_b32_e32 v159, v155
	;; [unrolled: 1-line block ×3, first 2 shown]
	v_pk_add_f32 v[14:15], v[148:149], v[14:15]
	v_pk_add_f32 v[124:125], v[124:125], v[64:65]
	;; [unrolled: 1-line block ×3, first 2 shown]
	v_pk_mul_f32 v[8:9], v[134:135], s[24:25] op_sel_hi:[1,0]
	v_pk_add_f32 v[14:15], v[144:145], v[14:15]
	v_mov_b32_e32 v143, v153
	v_pk_add_f32 v[124:125], v[124:125], v[66:67]
	v_pk_fma_f32 v[160:161], v[146:147], s[44:45], v[8:9] op_sel:[1,0,0] op_sel_hi:[0,0,1] neg_lo:[1,0,0] neg_hi:[1,0,0]
	v_pk_fma_f32 v[162:163], v[146:147], s[44:45], v[8:9] op_sel:[1,0,0] op_sel_hi:[0,0,1]
	v_pk_add_f32 v[14:15], v[142:143], v[14:15]
	v_pk_add_f32 v[142:143], v[62:63], v[64:65]
	v_pk_add_f32 v[126:127], v[64:65], v[62:63] neg_lo:[0,1] neg_hi:[0,1]
	v_pk_add_f32 v[64:65], v[124:125], v[48:49]
	v_mov_b32_e32 v8, v160
	v_mov_b32_e32 v9, v163
	v_pk_add_f32 v[64:65], v[64:65], v[50:51]
	v_pk_add_f32 v[8:9], v[8:9], v[10:11]
	v_pk_mul_f32 v[10:11], v[134:135], s[22:23] op_sel_hi:[1,0]
	v_pk_add_f32 v[140:141], v[60:61], v[66:67]
	v_pk_add_f32 v[130:131], v[66:67], v[60:61] neg_lo:[0,1] neg_hi:[0,1]
	v_pk_add_f32 v[60:61], v[64:65], v[60:61]
	v_pk_fma_f32 v[164:165], v[146:147], s[10:11], v[10:11] op_sel:[1,0,0] op_sel_hi:[0,0,1] neg_lo:[1,0,0] neg_hi:[1,0,0]
	v_pk_fma_f32 v[166:167], v[146:147], s[10:11], v[10:11] op_sel:[1,0,0] op_sel_hi:[0,0,1]
	v_pk_add_f32 v[60:61], v[60:61], v[62:63]
	v_mov_b32_e32 v10, v164
	v_mov_b32_e32 v11, v167
	;; [unrolled: 1-line block ×3, first 2 shown]
	v_pk_add_f32 v[164:165], v[58:59], v[52:53]
	v_pk_add_f32 v[124:125], v[52:53], v[58:59] neg_lo:[0,1] neg_hi:[0,1]
	v_pk_add_f32 v[52:53], v[60:61], v[56:57]
	s_mov_b32 s46, 0xbeedf032
	v_pk_add_f32 v[132:133], v[52:53], v[58:59]
	v_pk_add_f32 v[144:145], v[50:51], v[48:49]
	v_pk_add_f32 v[136:137], v[48:49], v[50:51] neg_lo:[0,1] neg_hi:[0,1]
	v_pk_mul_f32 v[50:51], v[118:119], s[46:47] op_sel_hi:[1,0]
	v_pk_add_f32 v[174:175], v[70:71], v[46:47]
	v_pk_add_f32 v[46:47], v[46:47], v[70:71] neg_lo:[0,1] neg_hi:[0,1]
	v_pk_fma_f32 v[48:49], v[74:75], s[42:43], v[50:51] op_sel:[0,0,1] op_sel_hi:[1,0,0]
	v_pk_fma_f32 v[74:75], v[74:75], s[42:43], v[50:51] op_sel:[0,0,1] op_sel_hi:[1,0,0] neg_lo:[0,0,1] neg_hi:[0,0,1]
	v_pk_mul_f32 v[60:61], v[146:147], s[14:15] op_sel:[1,0] op_sel_hi:[0,0]
	v_pk_add_f32 v[146:147], v[132:133], v[70:71]
	v_mov_b32_e32 v71, v175
	v_mov_b32_e32 v175, v46
	s_mov_b32 s43, s46
	v_pk_add_f32 v[10:11], v[10:11], v[158:159]
	v_pk_add_f32 v[158:159], v[56:57], v[54:55]
	v_pk_add_f32 v[128:129], v[54:55], v[56:57] neg_lo:[0,1] neg_hi:[0,1]
	v_pk_mul_f32 v[52:53], v[116:117], s[8:9] op_sel:[1,0] op_sel_hi:[0,0]
	v_pk_mul_f32 v[54:55], v[82:83], s[20:21] op_sel:[1,0] op_sel_hi:[0,0]
	;; [unrolled: 1-line block ×4, first 2 shown]
	v_mov_b32_e32 v70, v47
	s_mov_b32 s47, s42
	v_pk_mul_f32 v[122:123], v[174:175], s[42:43]
	v_pk_fma_f32 v[50:51], v[72:73], s[24:25], v[52:53] op_sel_hi:[1,0,1]
	v_pk_fma_f32 v[72:73], v[72:73], s[24:25], v[52:53] op_sel_hi:[1,0,1] neg_lo:[0,0,1] neg_hi:[0,0,1]
	v_pk_fma_f32 v[52:53], v[78:79], s[38:39], v[54:55] op_sel_hi:[1,0,1]
	v_pk_fma_f32 v[66:67], v[78:79], s[38:39], v[54:55] op_sel_hi:[1,0,1] neg_lo:[0,0,1] neg_hi:[0,0,1]
	;; [unrolled: 2-line block ×3, first 2 shown]
	v_mov_b32_e32 v47, v165
	v_mov_b32_e32 v165, v124
	v_pk_fma_f32 v[76:77], v[70:71], s[46:47], v[122:123] neg_lo:[1,0,0] neg_hi:[1,0,0]
	v_pk_fma_f32 v[116:117], v[70:71], s[46:47], v[122:123]
	s_mov_b32 s25, s8
	v_mov_b32_e32 v46, v125
	v_mov_b32_e32 v77, v117
	s_mov_b32 s9, s24
	v_pk_mul_f32 v[78:79], v[164:165], s[24:25]
	v_pk_add_f32 v[80:81], v[44:45], v[76:77]
	v_pk_fma_f32 v[82:83], v[46:47], s[8:9], v[78:79] neg_lo:[1,0,0] neg_hi:[1,0,0]
	v_pk_fma_f32 v[76:77], v[46:47], s[8:9], v[78:79]
	v_pk_fma_f32 v[56:57], v[120:121], s[28:29], v[58:59] op_sel_hi:[1,0,1]
	v_mov_b32_e32 v83, v77
	v_pk_fma_f32 v[62:63], v[120:121], s[28:29], v[58:59] op_sel_hi:[1,0,1] neg_lo:[0,0,1] neg_hi:[0,0,1]
	v_pk_add_f32 v[120:121], v[82:83], v[80:81]
	v_mov_b32_e32 v81, v159
	v_mov_b32_e32 v159, v128
	s_mov_b32 s39, s20
	v_mov_b32_e32 v80, v129
	s_mov_b32 s21, s38
	v_pk_mul_f32 v[118:119], v[158:159], s[38:39]
	s_mov_b32 s23, s10
	v_pk_fma_f32 v[124:125], v[80:81], s[20:21], v[118:119] neg_lo:[1,0,0] neg_hi:[1,0,0]
	v_pk_fma_f32 v[82:83], v[80:81], s[20:21], v[118:119]
	s_mov_b32 s11, s22
	v_mov_b32_e32 v125, v83
	v_pk_add_f32 v[128:129], v[124:125], v[120:121]
	v_mov_b32_e32 v121, v143
	v_mov_b32_e32 v143, v126
	;; [unrolled: 1-line block ×3, first 2 shown]
	v_pk_mul_f32 v[126:127], v[142:143], s[22:23]
	v_pk_fma_f32 v[58:59], v[134:135], s[26:27], v[60:61] op_sel_hi:[1,0,1]
	v_pk_fma_f32 v[132:133], v[120:121], s[10:11], v[126:127] neg_lo:[1,0,0] neg_hi:[1,0,0]
	v_pk_fma_f32 v[124:125], v[120:121], s[10:11], v[126:127]
	v_pk_fma_f32 v[60:61], v[134:135], s[26:27], v[60:61] op_sel_hi:[1,0,1] neg_lo:[0,0,1] neg_hi:[0,0,1]
	v_mov_b32_e32 v133, v125
	v_pk_add_f32 v[134:135], v[132:133], v[128:129]
	v_mov_b32_e32 v129, v141
	v_mov_b32_e32 v141, v130
	s_mov_b32 s29, s30
	v_mov_b32_e32 v128, v131
	s_mov_b32 s31, s28
	v_pk_mul_f32 v[132:133], v[140:141], s[28:29]
	s_mov_b32 s27, s14
	v_pk_fma_f32 v[138:139], v[128:129], s[30:31], v[132:133] neg_lo:[1,0,0] neg_hi:[1,0,0]
	v_pk_fma_f32 v[130:131], v[128:129], s[30:31], v[132:133]
	s_mov_b32 s15, s26
	v_mov_b32_e32 v139, v131
	v_pk_add_f32 v[148:149], v[138:139], v[134:135]
	v_mov_b32_e32 v135, v145
	v_mov_b32_e32 v145, v136
	;; [unrolled: 1-line block ×3, first 2 shown]
	v_pk_mul_f32 v[138:139], v[144:145], s[26:27]
	v_mul_lo_u16_e32 v77, 13, v84
	v_pk_fma_f32 v[150:151], v[134:135], s[14:15], v[138:139] neg_lo:[1,0,0] neg_hi:[1,0,0]
	v_pk_fma_f32 v[136:137], v[134:135], s[14:15], v[138:139]
	v_lshl_add_u32 v193, v77, 3, v98
	v_mov_b32_e32 v151, v137
	v_pk_add_f32 v[148:149], v[150:151], v[148:149]
	s_waitcnt lgkmcnt(0)
	; wave barrier
	ds_write2_b64 v193, v[146:147], v[148:149] offset1:1
	v_pk_mul_f32 v[148:149], v[174:175], s[24:25]
	v_mov_b32_e32 v155, v157
	v_pk_fma_f32 v[150:151], v[70:71], s[8:9], v[148:149] neg_lo:[1,0,0] neg_hi:[1,0,0]
	v_pk_fma_f32 v[146:147], v[70:71], s[8:9], v[148:149]
	v_pk_mul_f32 v[152:153], v[164:165], s[22:23]
	v_mov_b32_e32 v151, v147
	v_pk_add_f32 v[12:13], v[154:155], v[12:13]
	v_pk_add_f32 v[154:155], v[44:45], v[150:151]
	v_pk_fma_f32 v[156:157], v[46:47], s[10:11], v[152:153] neg_lo:[1,0,0] neg_hi:[1,0,0]
	v_pk_fma_f32 v[150:151], v[46:47], s[10:11], v[152:153]
	v_mov_b32_e32 v163, v161
	v_mov_b32_e32 v157, v151
	v_pk_add_f32 v[160:161], v[156:157], v[154:155]
	v_pk_mul_f32 v[156:157], v[158:159], s[26:27]
	v_pk_add_f32 v[14:15], v[162:163], v[14:15]
	v_pk_fma_f32 v[162:163], v[80:81], s[14:15], v[156:157] neg_lo:[1,0,0] neg_hi:[1,0,0]
	v_pk_fma_f32 v[154:155], v[80:81], s[14:15], v[156:157]
	s_mov_b32 s50, s28
	v_mov_b32_e32 v163, v155
	s_mov_b32 s51, s16
	v_pk_add_f32 v[12:13], v[166:167], v[12:13]
	v_pk_add_f32 v[166:167], v[162:163], v[160:161]
	s_mov_b32 s17, s28
	v_pk_mul_f32 v[162:163], v[142:143], s[50:51]
	s_mov_b32 s48, s38
	v_pk_fma_f32 v[168:169], v[120:121], s[16:17], v[162:163] neg_lo:[1,0,0] neg_hi:[1,0,0]
	v_pk_fma_f32 v[160:161], v[120:121], s[16:17], v[162:163]
	s_mov_b32 s49, s18
	v_mov_b32_e32 v169, v161
	v_pk_add_f32 v[170:171], v[168:169], v[166:167]
	s_mov_b32 s19, s38
	v_pk_mul_f32 v[168:169], v[140:141], s[48:49]
	s_mov_b32 s43, s34
	v_pk_fma_f32 v[172:173], v[128:129], s[18:19], v[168:169] neg_lo:[1,0,0] neg_hi:[1,0,0]
	v_pk_fma_f32 v[166:167], v[128:129], s[18:19], v[168:169]
	s_mov_b32 s35, s42
	v_mov_b32_e32 v173, v167
	v_pk_add_f32 v[176:177], v[172:173], v[170:171]
	v_pk_mul_f32 v[172:173], v[144:145], s[42:43]
	v_pk_mul_f32 v[182:183], v[164:165], s[26:27]
	v_pk_fma_f32 v[178:179], v[134:135], s[34:35], v[172:173] neg_lo:[1,0,0] neg_hi:[1,0,0]
	v_pk_fma_f32 v[170:171], v[134:135], s[34:35], v[172:173]
	v_pk_fma_f32 v[186:187], v[46:47], s[14:15], v[182:183] neg_lo:[1,0,0] neg_hi:[1,0,0]
	v_mov_b32_e32 v179, v171
	v_pk_add_f32 v[194:195], v[178:179], v[176:177]
	v_pk_mul_f32 v[178:179], v[174:175], s[38:39]
	s_mov_b32 s52, s22
	v_pk_fma_f32 v[180:181], v[70:71], s[20:21], v[178:179] neg_lo:[1,0,0] neg_hi:[1,0,0]
	v_pk_fma_f32 v[176:177], v[70:71], s[20:21], v[178:179]
	s_mov_b32 s53, s36
	v_mov_b32_e32 v181, v177
	v_pk_add_f32 v[184:185], v[44:45], v[180:181]
	v_pk_fma_f32 v[180:181], v[46:47], s[14:15], v[182:183]
	s_mov_b32 s37, s22
	v_mov_b32_e32 v187, v181
	v_pk_add_f32 v[188:189], v[186:187], v[184:185]
	v_pk_mul_f32 v[186:187], v[158:159], s[52:53]
	v_pk_mul_f32 v[198:199], v[142:143], s[42:43]
	v_pk_fma_f32 v[196:197], v[80:81], s[36:37], v[186:187] neg_lo:[1,0,0] neg_hi:[1,0,0]
	v_pk_fma_f32 v[184:185], v[80:81], s[36:37], v[186:187]
	v_pk_fma_f32 v[200:201], v[120:121], s[34:35], v[198:199] neg_lo:[1,0,0] neg_hi:[1,0,0]
	v_mov_b32_e32 v197, v185
	v_pk_add_f32 v[196:197], v[196:197], v[188:189]
	v_pk_fma_f32 v[188:189], v[120:121], s[34:35], v[198:199]
	v_pk_mul_f32 v[210:211], v[164:165], s[50:51]
	v_mov_b32_e32 v201, v189
	v_pk_add_f32 v[196:197], v[200:201], v[196:197]
	v_pk_mul_f32 v[200:201], v[140:141], s[24:25]
	v_pk_fma_f32 v[212:213], v[46:47], s[16:17], v[210:211] neg_lo:[1,0,0] neg_hi:[1,0,0]
	v_pk_fma_f32 v[202:203], v[128:129], s[8:9], v[200:201] neg_lo:[1,0,0] neg_hi:[1,0,0]
	v_pk_fma_f32 v[204:205], v[128:129], s[8:9], v[200:201]
	v_pk_fma_f32 v[214:215], v[46:47], s[16:17], v[210:211]
	v_mov_b32_e32 v203, v205
	v_pk_add_f32 v[196:197], v[202:203], v[196:197]
	v_pk_mul_f32 v[202:203], v[144:145], s[28:29]
	v_mov_b32_e32 v213, v215
	v_pk_fma_f32 v[206:207], v[134:135], s[30:31], v[202:203] neg_lo:[1,0,0] neg_hi:[1,0,0]
	v_pk_fma_f32 v[208:209], v[134:135], s[30:31], v[202:203]
	s_mov_b32 s41, s26
	v_mov_b32_e32 v207, v209
	v_pk_add_f32 v[196:197], v[206:207], v[196:197]
	ds_write2_b64 v193, v[194:195], v[196:197] offset0:2 offset1:3
	v_pk_mul_f32 v[194:195], v[174:175], s[22:23]
	s_mov_b32 s50, s24
	v_pk_fma_f32 v[196:197], v[70:71], s[10:11], v[194:195] neg_lo:[1,0,0] neg_hi:[1,0,0]
	v_pk_fma_f32 v[206:207], v[70:71], s[10:11], v[194:195]
	s_mov_b32 s51, s44
	v_mov_b32_e32 v197, v207
	v_pk_add_f32 v[196:197], v[44:45], v[196:197]
	s_mov_b32 s45, s24
	v_pk_add_f32 v[196:197], v[212:213], v[196:197]
	v_pk_mul_f32 v[212:213], v[158:159], s[42:43]
	v_pk_mul_f32 v[236:237], v[164:165], s[48:49]
	v_pk_fma_f32 v[216:217], v[80:81], s[34:35], v[212:213] neg_lo:[1,0,0] neg_hi:[1,0,0]
	v_pk_fma_f32 v[218:219], v[80:81], s[34:35], v[212:213]
	v_pk_fma_f32 v[238:239], v[46:47], s[18:19], v[236:237] neg_lo:[1,0,0] neg_hi:[1,0,0]
	v_mov_b32_e32 v217, v219
	v_pk_add_f32 v[196:197], v[216:217], v[196:197]
	v_pk_mul_f32 v[216:217], v[142:143], s[38:39]
	s_mov_b32 s38, s26
	v_pk_fma_f32 v[220:221], v[120:121], s[20:21], v[216:217] neg_lo:[1,0,0] neg_hi:[1,0,0]
	v_pk_fma_f32 v[222:223], v[120:121], s[20:21], v[216:217]
	s_mov_b32 s39, s40
	v_mov_b32_e32 v221, v223
	v_pk_add_f32 v[196:197], v[220:221], v[196:197]
	v_pk_mul_f32 v[220:221], v[140:141], s[38:39]
	v_pk_fma_f32 v[240:241], v[46:47], s[18:19], v[236:237]
	v_pk_fma_f32 v[224:225], v[128:129], s[40:41], v[220:221] neg_lo:[1,0,0] neg_hi:[1,0,0]
	v_pk_fma_f32 v[226:227], v[128:129], s[40:41], v[220:221]
	v_mov_b32_e32 v239, v241
	v_mov_b32_e32 v225, v227
	v_pk_add_f32 v[196:197], v[224:225], v[196:197]
	v_pk_mul_f32 v[224:225], v[144:145], s[50:51]
	v_pk_mul_f32 v[164:165], v[164:165], s[42:43]
	v_pk_fma_f32 v[228:229], v[134:135], s[44:45], v[224:225] neg_lo:[1,0,0] neg_hi:[1,0,0]
	v_pk_fma_f32 v[230:231], v[134:135], s[44:45], v[224:225]
	v_pk_fma_f32 v[88:89], v[46:47], s[34:35], v[164:165]
	v_mov_b32_e32 v229, v231
	v_pk_add_f32 v[196:197], v[228:229], v[196:197]
	v_pk_mul_f32 v[228:229], v[174:175], s[28:29]
	v_pk_mul_f32 v[174:175], v[174:175], s[26:27]
	v_pk_fma_f32 v[232:233], v[70:71], s[30:31], v[228:229] neg_lo:[1,0,0] neg_hi:[1,0,0]
	v_pk_fma_f32 v[234:235], v[70:71], s[30:31], v[228:229]
	s_nop 0
	v_mov_b32_e32 v233, v235
	v_pk_add_f32 v[232:233], v[44:45], v[232:233]
	s_nop 0
	v_pk_add_f32 v[232:233], v[238:239], v[232:233]
	v_pk_mul_f32 v[238:239], v[158:159], s[24:25]
	v_pk_mul_f32 v[158:159], v[158:159], s[28:29]
	v_pk_fma_f32 v[242:243], v[80:81], s[8:9], v[238:239] neg_lo:[1,0,0] neg_hi:[1,0,0]
	v_pk_fma_f32 v[244:245], v[80:81], s[8:9], v[238:239]
	v_pk_fma_f32 v[90:91], v[80:81], s[30:31], v[158:159]
	v_mov_b32_e32 v243, v245
	v_pk_add_f32 v[232:233], v[242:243], v[232:233]
	v_pk_mul_f32 v[242:243], v[142:143], s[38:39]
	v_pk_mul_f32 v[142:143], v[142:143], s[50:51]
	v_pk_fma_f32 v[246:247], v[120:121], s[40:41], v[242:243] neg_lo:[1,0,0] neg_hi:[1,0,0]
	v_pk_fma_f32 v[248:249], v[120:121], s[40:41], v[242:243]
	v_pk_fma_f32 v[92:93], v[120:121], s[44:45], v[142:143]
	v_mov_b32_e32 v247, v249
	;; [unrolled: 7-line block ×4, first 2 shown]
	v_pk_add_f32 v[232:233], v[254:255], v[232:233]
	ds_write2_b64 v193, v[196:197], v[232:233] offset0:4 offset1:5
	v_pk_fma_f32 v[196:197], v[70:71], s[14:15], v[174:175] neg_lo:[1,0,0] neg_hi:[1,0,0]
	v_pk_fma_f32 v[232:233], v[70:71], s[14:15], v[174:175]
	v_pk_fma_f32 v[254:255], v[46:47], s[34:35], v[164:165] neg_lo:[1,0,0] neg_hi:[1,0,0]
	v_mov_b32_e32 v197, v233
	v_pk_add_f32 v[196:197], v[44:45], v[196:197]
	v_mov_b32_e32 v255, v89
	v_pk_add_f32 v[196:197], v[254:255], v[196:197]
	v_pk_fma_f32 v[254:255], v[80:81], s[30:31], v[158:159] neg_lo:[1,0,0] neg_hi:[1,0,0]
	v_pk_fma_f32 v[174:175], v[70:71], s[14:15], v[174:175] neg_lo:[0,0,1] neg_hi:[0,0,1]
	v_mov_b32_e32 v255, v91
	v_mov_b32_e32 v233, v175
	v_pk_fma_f32 v[164:165], v[46:47], s[34:35], v[164:165] neg_lo:[0,0,1] neg_hi:[0,0,1]
	v_pk_add_f32 v[196:197], v[254:255], v[196:197]
	v_pk_fma_f32 v[254:255], v[120:121], s[44:45], v[142:143] neg_lo:[1,0,0] neg_hi:[1,0,0]
	v_mov_b32_e32 v89, v165
	v_pk_add_f32 v[164:165], v[44:45], v[232:233]
	v_pk_fma_f32 v[158:159], v[80:81], s[30:31], v[158:159] neg_lo:[0,0,1] neg_hi:[0,0,1]
	v_mov_b32_e32 v255, v93
	v_pk_add_f32 v[88:89], v[88:89], v[164:165]
	v_mov_b32_e32 v91, v159
	v_pk_add_f32 v[196:197], v[254:255], v[196:197]
	v_pk_fma_f32 v[254:255], v[128:129], s[10:11], v[140:141] neg_lo:[1,0,0] neg_hi:[1,0,0]
	v_pk_add_f32 v[88:89], v[90:91], v[88:89]
	v_pk_fma_f32 v[90:91], v[120:121], s[44:45], v[142:143] neg_lo:[0,0,1] neg_hi:[0,0,1]
	v_mov_b32_e32 v255, v95
	v_mov_b32_e32 v93, v91
	v_pk_fma_f32 v[90:91], v[128:129], s[10:11], v[140:141] neg_lo:[0,0,1] neg_hi:[0,0,1]
	v_pk_add_f32 v[196:197], v[254:255], v[196:197]
	v_pk_fma_f32 v[254:255], v[134:135], s[18:19], v[144:145] neg_lo:[1,0,0] neg_hi:[1,0,0]
	v_mov_b32_e32 v95, v91
	v_pk_fma_f32 v[90:91], v[134:135], s[18:19], v[144:145] neg_lo:[0,0,1] neg_hi:[0,0,1]
	v_mov_b32_e32 v255, v97
	v_mov_b32_e32 v97, v91
	v_pk_fma_f32 v[90:91], v[80:81], s[8:9], v[238:239] neg_lo:[0,0,1] neg_hi:[0,0,1]
	v_pk_add_f32 v[88:89], v[92:93], v[88:89]
	v_mov_b32_e32 v245, v91
	v_pk_fma_f32 v[90:91], v[120:121], s[40:41], v[242:243] neg_lo:[0,0,1] neg_hi:[0,0,1]
	v_pk_add_f32 v[88:89], v[94:95], v[88:89]
	;; [unrolled: 3-line block ×3, first 2 shown]
	v_pk_add_f32 v[88:89], v[96:97], v[88:89]
	v_mov_b32_e32 v253, v91
	v_pk_fma_f32 v[90:91], v[134:135], s[10:11], v[250:251] neg_lo:[0,0,1] neg_hi:[0,0,1]
	ds_write2_b64 v193, v[196:197], v[88:89] offset0:6 offset1:7
	v_pk_fma_f32 v[88:89], v[70:71], s[30:31], v[228:229] neg_lo:[0,0,1] neg_hi:[0,0,1]
	v_mov_b32_e32 v191, v91
	v_pk_fma_f32 v[90:91], v[70:71], s[10:11], v[194:195] neg_lo:[0,0,1] neg_hi:[0,0,1]
	v_mov_b32_e32 v235, v89
	;; [unrolled: 2-line block ×4, first 2 shown]
	v_pk_add_f32 v[88:89], v[44:45], v[234:235]
	v_mov_b32_e32 v215, v91
	v_pk_add_f32 v[90:91], v[44:45], v[206:207]
	v_pk_fma_f32 v[92:93], v[80:81], s[34:35], v[212:213] neg_lo:[0,0,1] neg_hi:[0,0,1]
	v_pk_add_f32 v[88:89], v[240:241], v[88:89]
	v_pk_add_f32 v[90:91], v[214:215], v[90:91]
	v_mov_b32_e32 v219, v93
	v_pk_fma_f32 v[92:93], v[120:121], s[20:21], v[216:217] neg_lo:[0,0,1] neg_hi:[0,0,1]
	v_pk_add_f32 v[88:89], v[244:245], v[88:89]
	v_pk_add_f32 v[90:91], v[218:219], v[90:91]
	v_mov_b32_e32 v223, v93
	;; [unrolled: 4-line block ×4, first 2 shown]
	v_pk_add_f32 v[88:89], v[190:191], v[88:89]
	v_pk_add_f32 v[90:91], v[230:231], v[90:91]
	ds_write2_b64 v193, v[88:89], v[90:91] offset0:8 offset1:9
	v_pk_fma_f32 v[90:91], v[80:81], s[36:37], v[186:187] neg_lo:[0,0,1] neg_hi:[0,0,1]
	v_pk_fma_f32 v[88:89], v[70:71], s[20:21], v[178:179] neg_lo:[0,0,1] neg_hi:[0,0,1]
	v_mov_b32_e32 v185, v91
	v_pk_fma_f32 v[90:91], v[120:121], s[34:35], v[198:199] neg_lo:[0,0,1] neg_hi:[0,0,1]
	v_mov_b32_e32 v177, v89
	v_mov_b32_e32 v189, v91
	v_pk_fma_f32 v[90:91], v[128:129], s[8:9], v[200:201] neg_lo:[0,0,1] neg_hi:[0,0,1]
	v_pk_fma_f32 v[88:89], v[46:47], s[14:15], v[182:183] neg_lo:[0,0,1] neg_hi:[0,0,1]
	v_mov_b32_e32 v205, v91
	v_pk_fma_f32 v[90:91], v[134:135], s[30:31], v[202:203] neg_lo:[0,0,1] neg_hi:[0,0,1]
	v_mov_b32_e32 v181, v89
	v_mov_b32_e32 v209, v91
	v_pk_fma_f32 v[90:91], v[70:71], s[8:9], v[148:149] neg_lo:[0,0,1] neg_hi:[0,0,1]
	v_pk_add_f32 v[88:89], v[44:45], v[176:177]
	v_mov_b32_e32 v147, v91
	v_pk_fma_f32 v[90:91], v[46:47], s[10:11], v[152:153] neg_lo:[0,0,1] neg_hi:[0,0,1]
	v_pk_fma_f32 v[92:93], v[80:81], s[14:15], v[156:157] neg_lo:[0,0,1] neg_hi:[0,0,1]
	v_mov_b32_e32 v151, v91
	v_pk_add_f32 v[90:91], v[44:45], v[146:147]
	v_pk_add_f32 v[88:89], v[180:181], v[88:89]
	;; [unrolled: 1-line block ×3, first 2 shown]
	v_mov_b32_e32 v155, v93
	v_pk_fma_f32 v[92:93], v[120:121], s[16:17], v[162:163] neg_lo:[0,0,1] neg_hi:[0,0,1]
	v_pk_add_f32 v[88:89], v[184:185], v[88:89]
	v_pk_add_f32 v[90:91], v[154:155], v[90:91]
	v_mov_b32_e32 v161, v93
	v_pk_fma_f32 v[92:93], v[128:129], s[18:19], v[168:169] neg_lo:[0,0,1] neg_hi:[0,0,1]
	v_pk_add_f32 v[88:89], v[188:189], v[88:89]
	v_pk_add_f32 v[90:91], v[160:161], v[90:91]
	;; [unrolled: 4-line block ×4, first 2 shown]
	v_mov_b32_e32 v117, v71
	v_mov_b32_e32 v70, v48
	;; [unrolled: 1-line block ×3, first 2 shown]
	ds_write2_b64 v193, v[88:89], v[90:91] offset0:10 offset1:11
	v_pk_add_f32 v[70:71], v[70:71], v[20:21]
	v_mov_b32_e32 v88, v50
	v_mov_b32_e32 v89, v73
	v_pk_add_f32 v[70:71], v[88:89], v[70:71]
	v_mov_b32_e32 v88, v52
	v_mov_b32_e32 v89, v67
	;; [unrolled: 3-line block ×5, first 2 shown]
	v_pk_fma_f32 v[46:47], v[46:47], s[8:9], v[78:79] neg_lo:[0,0,1] neg_hi:[0,0,1]
	v_pk_add_f32 v[44:45], v[44:45], v[116:117]
	v_pk_add_f32 v[70:71], v[88:89], v[70:71]
	v_mov_b32_e32 v77, v47
	v_pk_fma_f32 v[46:47], v[80:81], s[20:21], v[118:119] neg_lo:[0,0,1] neg_hi:[0,0,1]
	v_accvgpr_write_b32 a30, v70
	v_pk_add_f32 v[44:45], v[76:77], v[44:45]
	v_mov_b32_e32 v83, v47
	v_pk_fma_f32 v[46:47], v[120:121], s[10:11], v[126:127] neg_lo:[0,0,1] neg_hi:[0,0,1]
	v_accvgpr_write_b32 a31, v71
	v_pk_add_f32 v[44:45], v[82:83], v[44:45]
	v_mov_b32_e32 v125, v47
	v_pk_fma_f32 v[70:71], v[128:129], s[30:31], v[132:133] neg_lo:[0,0,1] neg_hi:[0,0,1]
	v_pk_add_f32 v[46:47], v[124:125], v[44:45]
	v_lshl_add_u64 v[44:45], v[84:85], 0, 13
	v_mov_b32_e32 v131, v71
	v_pk_fma_f32 v[70:71], v[134:135], s[14:15], v[138:139] neg_lo:[0,0,1] neg_hi:[0,0,1]
	v_pk_add_f32 v[46:47], v[130:131], v[46:47]
	v_mov_b32_e32 v137, v71
	v_mul_u32_u24_e32 v45, 13, v44
	v_pk_add_f32 v[46:47], v[136:137], v[46:47]
	v_accvgpr_write_b32 a29, v45
	ds_write_b64 v193, v[46:47] offset:96
	s_and_saveexec_b64 s[8:9], vcc
	s_cbranch_execz .LBB0_7
; %bb.6:
	v_pk_add_f32 v[22:23], v[22:23], v[20:21]
	v_mov_b32_e32 v75, v49
	v_pk_add_f32 v[22:23], v[36:37], v[22:23]
	v_pk_add_f32 v[20:21], v[74:75], v[20:21]
	v_pk_add_f32 v[22:23], v[38:39], v[22:23]
	v_mov_b32_e32 v73, v51
	v_pk_add_f32 v[22:23], v[28:29], v[22:23]
	v_pk_add_f32 v[20:21], v[72:73], v[20:21]
	;; [unrolled: 4-line block ×4, first 2 shown]
	v_pk_add_f32 v[22:23], v[34:35], v[22:23]
	v_mov_b32_e32 v63, v57
	v_pk_add_f32 v[22:23], v[40:41], v[22:23]
	v_accvgpr_read_b32 v45, a29
	v_pk_add_f32 v[22:23], v[42:43], v[22:23]
	v_pk_add_f32 v[20:21], v[62:63], v[20:21]
	v_mov_b32_e32 v61, v59
	v_lshl_add_u32 v45, v45, 3, v98
	v_pk_add_f32 v[22:23], v[68:69], v[22:23]
	v_pk_add_f32 v[20:21], v[60:61], v[20:21]
	ds_write2_b64 v45, v[22:23], v[20:21] offset1:1
	ds_write2_b64 v45, v[0:1], v[2:3] offset0:2 offset1:3
	ds_write2_b64 v45, v[8:9], v[10:11] offset0:4 offset1:5
	;; [unrolled: 1-line block ×5, first 2 shown]
	ds_write_b64 v45, a[30:31] offset:96
.LBB0_7:
	s_or_b64 exec, exec, s[8:9]
	v_lshlrev_b32_e32 v60, 5, v84
	s_waitcnt lgkmcnt(0)
	; wave barrier
	s_waitcnt lgkmcnt(0)
	global_load_dwordx4 v[24:27], v60, s[0:1]
	global_load_dwordx4 v[20:23], v60, s[0:1] offset:16
	v_lshl_add_u64 v[40:41], v[84:85], 0, 26
	s_movk_i32 s8, 0x4f
	v_mul_lo_u16_sdwa v28, v40, s8 dst_sel:DWORD dst_unused:UNUSED_PAD src0_sel:BYTE_0 src1_sel:DWORD
	v_lshrrev_b16_e32 v28, 10, v28
	v_mul_lo_u16_e32 v28, 13, v28
	v_sub_u16_e32 v41, v40, v28
	v_lshlrev_b16_e32 v28, 2, v41
	v_and_b32_e32 v28, 0xfc, v28
	v_lshlrev_b32_e32 v36, 3, v28
	global_load_dwordx4 v[32:35], v36, s[0:1]
	global_load_dwordx4 v[28:31], v36, s[0:1] offset:16
	ds_read2_b64 v[46:49], v101 offset1:13
	ds_read2_b64 v[36:39], v101 offset0:26 offset1:39
	ds_read2_b64 v[50:53], v101 offset0:78 offset1:91
	;; [unrolled: 1-line block ×4, first 2 shown]
	s_mov_b32 s8, 0x3f737871
	ds_read2_b64 v[66:69], v101 offset0:52 offset1:65
	ds_read2_b64 v[70:73], v101 offset0:130 offset1:143
	ds_read_b64 v[42:43], v101 offset:1456
	s_mov_b32 s14, 0x3f167918
	s_mov_b32 s10, 0x3e9e377a
	s_waitcnt lgkmcnt(0)
	; wave barrier
	s_waitcnt lgkmcnt(0)
	v_and_b32_e32 v41, 0xff, v41
	v_lshl_add_u32 v192, v41, 3, v98
	v_mov_b32_e32 v61, 0
	v_lshl_add_u32 v85, v84, 3, v98
	v_accvgpr_write_b32 a28, v98
	s_waitcnt vmcnt(3)
	v_pk_mul_f32 v[58:59], v[38:39], v[24:25] op_sel:[0,1]
	v_mov_b32_e32 v74, v27
	s_waitcnt vmcnt(2)
	v_pk_mul_f32 v[76:77], v[56:57], v[20:21] op_sel:[0,1]
	v_mov_b32_e32 v78, v23
	v_pk_fma_f32 v[80:81], v[38:39], v[24:25], v[58:59] op_sel:[0,0,1] op_sel_hi:[1,1,0] neg_lo:[0,0,1] neg_hi:[0,0,1]
	v_pk_fma_f32 v[38:39], v[38:39], v[24:25], v[58:59] op_sel:[0,0,1] op_sel_hi:[1,0,0]
	v_pk_mul_f32 v[58:59], v[50:51], v[74:75] op_sel_hi:[1,0]
	v_pk_fma_f32 v[82:83], v[56:57], v[20:21], v[76:77] op_sel:[0,0,1] op_sel_hi:[1,1,0] neg_lo:[0,0,1] neg_hi:[0,0,1]
	v_pk_fma_f32 v[56:57], v[56:57], v[20:21], v[76:77] op_sel:[0,0,1] op_sel_hi:[1,0,0]
	v_pk_mul_f32 v[76:77], v[62:63], v[78:79] op_sel_hi:[1,0]
	v_mov_b32_e32 v81, v39
	v_pk_fma_f32 v[38:39], v[50:51], v[26:27], v[58:59] op_sel:[0,0,1] op_sel_hi:[1,1,0] neg_lo:[0,0,1] neg_hi:[0,0,1]
	v_pk_fma_f32 v[50:51], v[50:51], v[26:27], v[58:59] op_sel:[0,0,1] op_sel_hi:[1,0,0]
	v_mov_b32_e32 v83, v57
	v_pk_fma_f32 v[56:57], v[62:63], v[22:23], v[76:77] op_sel:[0,0,1] op_sel_hi:[1,1,0] neg_lo:[0,0,1] neg_hi:[0,0,1]
	v_pk_fma_f32 v[58:59], v[62:63], v[22:23], v[76:77] op_sel:[0,0,1] op_sel_hi:[1,0,0]
	v_mov_b32_e32 v39, v51
	v_mov_b32_e32 v57, v59
	v_pk_add_f32 v[50:51], v[46:47], v[80:81]
	v_pk_add_f32 v[58:59], v[38:39], v[82:83]
	;; [unrolled: 1-line block ×4, first 2 shown]
	v_pk_add_f32 v[62:63], v[80:81], v[56:57] neg_lo:[0,1] neg_hi:[0,1]
	v_pk_add_f32 v[76:77], v[38:39], v[82:83] neg_lo:[0,1] neg_hi:[0,1]
	;; [unrolled: 1-line block ×5, first 2 shown]
	v_pk_fma_f32 v[58:59], v[58:59], 0.5, v[46:47] op_sel_hi:[1,0,1] neg_lo:[1,0,0] neg_hi:[1,0,0]
	v_pk_add_f32 v[50:51], v[50:51], v[82:83]
	v_pk_fma_f32 v[46:47], v[92:93], 0.5, v[46:47] op_sel_hi:[1,0,1] neg_lo:[1,0,0] neg_hi:[1,0,0]
	v_pk_add_f32 v[90:91], v[56:57], v[82:83] neg_lo:[0,1] neg_hi:[0,1]
	v_pk_add_f32 v[38:39], v[38:39], v[80:81]
	v_pk_fma_f32 v[80:81], v[62:63], s[8:9], v[58:59] op_sel:[1,0,0] op_sel_hi:[0,0,1]
	v_pk_fma_f32 v[58:59], v[62:63], s[8:9], v[58:59] op_sel:[1,0,0] op_sel_hi:[0,0,1] neg_lo:[1,0,0] neg_hi:[1,0,0]
	v_pk_add_f32 v[50:51], v[50:51], v[56:57]
	v_pk_fma_f32 v[56:57], v[76:77], s[8:9], v[46:47] op_sel:[1,0,0] op_sel_hi:[0,0,1] neg_lo:[1,0,0] neg_hi:[1,0,0]
	v_pk_fma_f32 v[46:47], v[76:77], s[8:9], v[46:47] op_sel:[1,0,0] op_sel_hi:[0,0,1]
	v_pk_fma_f32 v[58:59], v[76:77], s[14:15], v[58:59] op_sel:[1,0,0] op_sel_hi:[0,0,1] neg_lo:[1,0,0] neg_hi:[1,0,0]
	v_pk_fma_f32 v[76:77], v[76:77], s[14:15], v[80:81] op_sel:[1,0,0] op_sel_hi:[0,0,1]
	v_pk_fma_f32 v[46:47], v[62:63], s[14:15], v[46:47] op_sel:[1,0,0] op_sel_hi:[0,0,1] neg_lo:[1,0,0] neg_hi:[1,0,0]
	v_pk_fma_f32 v[56:57], v[62:63], s[14:15], v[56:57] op_sel:[1,0,0] op_sel_hi:[0,0,1]
	v_pk_add_f32 v[88:89], v[88:89], v[90:91]
	s_waitcnt vmcnt(1)
	v_pk_mul_f32 v[62:63], v[68:69], v[32:33] op_sel:[0,1]
	v_mov_b32_e32 v80, v35
	v_mov_b32_e32 v90, v76
	;; [unrolled: 1-line block ×6, first 2 shown]
	v_pk_fma_f32 v[56:57], v[68:69], v[32:33], v[62:63] op_sel:[0,0,1] op_sel_hi:[1,1,0] neg_lo:[0,0,1] neg_hi:[0,0,1]
	v_pk_fma_f32 v[62:63], v[68:69], v[32:33], v[62:63] op_sel:[0,0,1] op_sel_hi:[1,0,0]
	v_pk_mul_f32 v[68:69], v[54:55], v[80:81] op_sel_hi:[1,0]
	v_pk_fma_f32 v[80:81], v[88:89], s[10:11], v[90:91] op_sel_hi:[1,0,1]
	v_pk_fma_f32 v[90:91], v[38:39], s[10:11], v[92:93] op_sel_hi:[1,0,1]
	v_pk_mul_f32 v[92:93], v[66:67], v[24:25] op_sel:[0,1]
	v_pk_fma_f32 v[38:39], v[38:39], s[10:11], v[46:47] op_sel_hi:[1,0,1]
	v_pk_fma_f32 v[94:95], v[66:67], v[24:25], v[92:93] op_sel:[0,0,1] op_sel_hi:[1,1,0] neg_lo:[0,0,1] neg_hi:[0,0,1]
	v_pk_fma_f32 v[66:67], v[66:67], v[24:25], v[92:93] op_sel:[0,0,1] op_sel_hi:[1,0,0]
	ds_write2_b64 v101, v[50:51], v[80:81] offset1:13
	ds_write2_b64 v101, v[90:91], v[38:39] offset0:26 offset1:39
	v_mov_b32_e32 v95, v67
	v_pk_mul_f32 v[66:67], v[52:53], v[74:75] op_sel_hi:[1,0]
	v_pk_add_f32 v[38:39], v[48:49], v[94:95]
	v_pk_fma_f32 v[74:75], v[52:53], v[26:27], v[66:67] op_sel:[0,0,1] op_sel_hi:[1,1,0] neg_lo:[0,0,1] neg_hi:[0,0,1]
	v_pk_fma_f32 v[52:53], v[52:53], v[26:27], v[66:67] op_sel:[0,0,1] op_sel_hi:[1,0,0]
	v_mov_b32_e32 v59, v77
	v_mov_b32_e32 v75, v53
	v_pk_mul_f32 v[52:53], v[70:71], v[20:21] op_sel:[0,1]
	v_pk_add_f32 v[38:39], v[38:39], v[74:75]
	v_pk_fma_f32 v[66:67], v[70:71], v[20:21], v[52:53] op_sel:[0,0,1] op_sel_hi:[1,1,0] neg_lo:[0,0,1] neg_hi:[0,0,1]
	v_pk_fma_f32 v[52:53], v[70:71], v[20:21], v[52:53] op_sel:[0,0,1] op_sel_hi:[1,0,0]
	s_waitcnt vmcnt(0)
	v_pk_mul_f32 v[82:83], v[72:73], v[28:29] op_sel:[0,1]
	v_mov_b32_e32 v67, v53
	v_pk_mul_f32 v[52:53], v[64:65], v[78:79] op_sel_hi:[1,0]
	v_pk_add_f32 v[38:39], v[38:39], v[66:67]
	v_pk_fma_f32 v[70:71], v[64:65], v[22:23], v[52:53] op_sel:[0,0,1] op_sel_hi:[1,1,0] neg_lo:[0,0,1] neg_hi:[0,0,1]
	v_pk_fma_f32 v[52:53], v[64:65], v[22:23], v[52:53] op_sel:[0,0,1] op_sel_hi:[1,0,0]
	v_pk_fma_f32 v[46:47], v[88:89], s[10:11], v[58:59] op_sel_hi:[1,0,1]
	v_mov_b32_e32 v71, v53
	v_pk_fma_f32 v[58:59], v[54:55], v[34:35], v[68:69] op_sel:[0,0,1] op_sel_hi:[1,1,0] neg_lo:[0,0,1] neg_hi:[0,0,1]
	v_pk_fma_f32 v[54:55], v[54:55], v[34:35], v[68:69] op_sel:[0,0,1] op_sel_hi:[1,0,0]
	v_pk_add_f32 v[52:53], v[74:75], v[66:67]
	v_pk_add_f32 v[38:39], v[38:39], v[70:71]
	v_mov_b32_e32 v59, v55
	v_pk_fma_f32 v[54:55], v[72:73], v[28:29], v[82:83] op_sel:[0,0,1] op_sel_hi:[1,0,0]
	v_pk_fma_f32 v[52:53], v[52:53], 0.5, v[48:49] op_sel_hi:[1,0,1] neg_lo:[1,0,0] neg_hi:[1,0,0]
	v_pk_add_f32 v[64:65], v[94:95], v[70:71] neg_lo:[0,1] neg_hi:[0,1]
	v_pk_add_f32 v[92:93], v[94:95], v[74:75] neg_lo:[0,1] neg_hi:[0,1]
	;; [unrolled: 1-line block ×3, first 2 shown]
	ds_write2_b64 v101, v[46:47], v[38:39] offset0:52 offset1:65
	v_pk_add_f32 v[46:47], v[94:95], v[70:71]
	v_pk_fma_f32 v[76:77], v[72:73], v[28:29], v[82:83] op_sel:[0,0,1] op_sel_hi:[1,1,0] neg_lo:[0,0,1] neg_hi:[0,0,1]
	v_mov_b32_e32 v54, v31
	v_pk_add_f32 v[78:79], v[74:75], v[66:67] neg_lo:[0,1] neg_hi:[0,1]
	v_pk_add_f32 v[92:93], v[92:93], v[96:97]
	v_pk_fma_f32 v[96:97], v[64:65], s[8:9], v[52:53] op_sel:[1,0,0] op_sel_hi:[0,0,1] neg_lo:[1,0,0] neg_hi:[1,0,0]
	v_pk_fma_f32 v[52:53], v[64:65], s[8:9], v[52:53] op_sel:[1,0,0] op_sel_hi:[0,0,1]
	v_pk_fma_f32 v[46:47], v[46:47], 0.5, v[48:49] op_sel_hi:[1,0,1] neg_lo:[1,0,0] neg_hi:[1,0,0]
	v_pk_add_f32 v[48:49], v[74:75], v[94:95] neg_lo:[0,1] neg_hi:[0,1]
	v_pk_add_f32 v[50:51], v[66:67], v[70:71] neg_lo:[0,1] neg_hi:[0,1]
	v_mov_b32_e32 v77, v55
	v_pk_mul_f32 v[54:55], v[42:43], v[54:55] op_sel_hi:[1,0]
	v_pk_fma_f32 v[52:53], v[78:79], s[14:15], v[52:53] op_sel:[1,0,0] op_sel_hi:[0,0,1]
	v_pk_fma_f32 v[96:97], v[78:79], s[14:15], v[96:97] op_sel:[1,0,0] op_sel_hi:[0,0,1] neg_lo:[1,0,0] neg_hi:[1,0,0]
	v_pk_add_f32 v[48:49], v[48:49], v[50:51]
	v_pk_fma_f32 v[50:51], v[78:79], s[8:9], v[46:47] op_sel:[1,0,0] op_sel_hi:[0,0,1]
	v_pk_fma_f32 v[46:47], v[78:79], s[8:9], v[46:47] op_sel:[1,0,0] op_sel_hi:[0,0,1] neg_lo:[1,0,0] neg_hi:[1,0,0]
	v_mov_b32_e32 v57, v63
	v_pk_fma_f32 v[62:63], v[42:43], v[30:31], v[54:55] op_sel:[0,0,1] op_sel_hi:[1,1,0] neg_lo:[0,0,1] neg_hi:[0,0,1]
	v_pk_fma_f32 v[42:43], v[42:43], v[30:31], v[54:55] op_sel:[0,0,1] op_sel_hi:[1,0,0]
	v_mov_b32_e32 v119, v53
	v_mov_b32_e32 v53, v97
	v_pk_fma_f32 v[46:47], v[64:65], s[14:15], v[46:47] op_sel:[1,0,0] op_sel_hi:[0,0,1]
	v_pk_fma_f32 v[50:51], v[64:65], s[14:15], v[50:51] op_sel:[1,0,0] op_sel_hi:[0,0,1] neg_lo:[1,0,0] neg_hi:[1,0,0]
	v_mov_b32_e32 v63, v43
	v_pk_add_f32 v[42:43], v[58:59], v[76:77]
	v_pk_fma_f32 v[38:39], v[92:93], s[10:11], v[52:53] op_sel_hi:[1,0,1]
	v_mov_b32_e32 v53, v47
	v_mov_b32_e32 v47, v51
	v_pk_fma_f32 v[42:43], v[42:43], 0.5, v[36:37] op_sel_hi:[1,0,1] neg_lo:[1,0,0] neg_hi:[1,0,0]
	v_pk_add_f32 v[54:55], v[56:57], v[62:63] neg_lo:[0,1] neg_hi:[0,1]
	v_pk_add_f32 v[72:73], v[56:57], v[58:59] neg_lo:[0,1] neg_hi:[0,1]
	;; [unrolled: 1-line block ×3, first 2 shown]
	v_mov_b32_e32 v118, v96
	v_mov_b32_e32 v52, v50
	v_pk_fma_f32 v[46:47], v[48:49], s[10:11], v[46:47] op_sel_hi:[1,0,1]
	v_pk_add_f32 v[68:69], v[58:59], v[76:77] neg_lo:[0,1] neg_hi:[0,1]
	v_pk_add_f32 v[72:73], v[72:73], v[82:83]
	v_pk_fma_f32 v[82:83], v[54:55], s[8:9], v[42:43] op_sel:[1,0,0] op_sel_hi:[0,0,1] neg_lo:[1,0,0] neg_hi:[1,0,0]
	v_pk_fma_f32 v[42:43], v[54:55], s[8:9], v[42:43] op_sel:[1,0,0] op_sel_hi:[0,0,1]
	v_pk_fma_f32 v[118:119], v[92:93], s[10:11], v[118:119] op_sel_hi:[1,0,1]
	v_pk_fma_f32 v[52:53], v[48:49], s[10:11], v[52:53] op_sel_hi:[1,0,1]
	ds_write2_b64 v101, v[38:39], v[46:47] offset0:78 offset1:91
	ds_write2_b64 v101, v[52:53], v[118:119] offset0:104 offset1:117
	v_pk_add_f32 v[38:39], v[36:37], v[56:57]
	v_pk_fma_f32 v[42:43], v[68:69], s[14:15], v[42:43] op_sel:[1,0,0] op_sel_hi:[0,0,1]
	v_pk_fma_f32 v[82:83], v[68:69], s[14:15], v[82:83] op_sel:[1,0,0] op_sel_hi:[0,0,1] neg_lo:[1,0,0] neg_hi:[1,0,0]
	v_pk_add_f32 v[38:39], v[38:39], v[58:59]
	v_mov_b32_e32 v89, v43
	v_pk_add_f32 v[38:39], v[38:39], v[76:77]
	v_mov_b32_e32 v43, v83
	v_pk_add_f32 v[38:39], v[38:39], v[62:63]
	v_pk_fma_f32 v[42:43], v[72:73], s[10:11], v[42:43] op_sel_hi:[1,0,1]
	ds_write2_b64 v192, v[38:39], v[42:43] offset0:130 offset1:143
	v_pk_add_f32 v[38:39], v[56:57], v[62:63]
	v_pk_add_f32 v[42:43], v[76:77], v[62:63] neg_lo:[0,1] neg_hi:[0,1]
	v_pk_fma_f32 v[36:37], v[38:39], 0.5, v[36:37] op_sel_hi:[1,0,1] neg_lo:[1,0,0] neg_hi:[1,0,0]
	v_pk_add_f32 v[38:39], v[58:59], v[56:57] neg_lo:[0,1] neg_hi:[0,1]
	v_mov_b32_e32 v88, v82
	v_pk_add_f32 v[38:39], v[38:39], v[42:43]
	v_pk_fma_f32 v[42:43], v[68:69], s[8:9], v[36:37] op_sel:[1,0,0] op_sel_hi:[0,0,1]
	v_pk_fma_f32 v[36:37], v[68:69], s[8:9], v[36:37] op_sel:[1,0,0] op_sel_hi:[0,0,1] neg_lo:[1,0,0] neg_hi:[1,0,0]
	v_pk_fma_f32 v[36:37], v[54:55], s[14:15], v[36:37] op_sel:[1,0,0] op_sel_hi:[0,0,1]
	v_pk_fma_f32 v[42:43], v[54:55], s[14:15], v[42:43] op_sel:[1,0,0] op_sel_hi:[0,0,1] neg_lo:[1,0,0] neg_hi:[1,0,0]
	v_mov_b32_e32 v46, v42
	v_mov_b32_e32 v47, v37
	;; [unrolled: 1-line block ×3, first 2 shown]
	v_pk_fma_f32 v[46:47], v[38:39], s[10:11], v[46:47] op_sel_hi:[1,0,1]
	v_pk_fma_f32 v[36:37], v[38:39], s[10:11], v[36:37] op_sel_hi:[1,0,1]
	;; [unrolled: 1-line block ×3, first 2 shown]
	ds_write2_b64 v192, v[36:37], v[46:47] offset0:156 offset1:169
	ds_write_b64 v192, v[88:89] offset:1456
	v_lshlrev_b32_e32 v36, 4, v44
	s_waitcnt lgkmcnt(0)
	; wave barrier
	s_waitcnt lgkmcnt(0)
	global_load_dwordx4 v[48:51], v36, s[0:1] offset:416
	v_lshlrev_b32_e32 v36, 4, v40
	global_load_dwordx4 v[44:47], v36, s[0:1] offset:416
	v_lshlrev_b32_e32 v54, 4, v84
	v_add_u32_e32 v36, 0x270, v54
	global_load_dwordx4 v[40:43], v36, s[0:1] offset:416
	v_add_u32_e32 v36, 0x340, v54
	global_load_dwordx4 v[36:39], v36, s[0:1] offset:416
	v_lshl_add_u64 v[52:53], s[0:1], 0, v[60:61]
	v_sub_co_u32_e64 v52, s[0:1], v52, v54
	s_add_u32 s8, s12, 0x618
	s_nop 0
	v_subbrev_co_u32_e64 v53, s[0:1], 0, v53, s[0:1]
	global_load_dwordx4 v[52:55], v[52:53], off offset:416
	ds_read2_b64 v[56:59], v101 offset0:78 offset1:91
	ds_read2_b64 v[62:65], v101 offset0:52 offset1:65
	ds_read2_b64 v[66:69], v101 offset1:13
	ds_read2_b64 v[70:73], v101 offset0:130 offset1:143
	s_mov_b32 s0, 0x3f5db3d7
	s_addc_u32 s9, s13, 0
	s_waitcnt vmcnt(4) lgkmcnt(3)
	v_pk_mul_f32 v[74:75], v[56:57], v[48:49] op_sel:[0,1]
	s_nop 0
	v_pk_fma_f32 v[80:81], v[56:57], v[48:49], v[74:75] op_sel:[0,0,1] op_sel_hi:[1,1,0] neg_lo:[0,0,1] neg_hi:[0,0,1]
	v_pk_fma_f32 v[56:57], v[56:57], v[48:49], v[74:75] op_sel:[0,0,1] op_sel_hi:[1,0,0]
	s_waitcnt vmcnt(0)
	v_mov_b32_e32 v60, v55
	v_mov_b32_e32 v56, v51
	v_mov_b32_e32 v81, v57
	s_waitcnt lgkmcnt(0)
	v_pk_mul_f32 v[56:57], v[72:73], v[56:57] op_sel_hi:[1,0]
	s_nop 0
	v_pk_fma_f32 v[82:83], v[72:73], v[50:51], v[56:57] op_sel:[0,0,1] op_sel_hi:[1,1,0] neg_lo:[0,0,1] neg_hi:[0,0,1]
	v_pk_fma_f32 v[56:57], v[72:73], v[50:51], v[56:57] op_sel:[0,0,1] op_sel_hi:[1,0,0]
	ds_read2_b64 v[72:75], v101 offset0:26 offset1:39
	ds_read2_b64 v[76:79], v101 offset0:156 offset1:169
	v_mov_b32_e32 v83, v57
	v_pk_add_f32 v[56:57], v[68:69], v[80:81]
	s_nop 0
	v_pk_add_f32 v[88:89], v[56:57], v[82:83]
	v_pk_mul_f32 v[56:57], v[58:59], v[44:45] op_sel:[0,1]
	s_nop 0
	v_pk_fma_f32 v[90:91], v[58:59], v[44:45], v[56:57] op_sel:[0,0,1] op_sel_hi:[1,1,0] neg_lo:[0,0,1] neg_hi:[0,0,1]
	v_pk_fma_f32 v[56:57], v[58:59], v[44:45], v[56:57] op_sel:[0,0,1] op_sel_hi:[1,0,0]
	s_nop 0
	v_mov_b32_e32 v56, v47
	v_mov_b32_e32 v91, v57
	s_waitcnt lgkmcnt(0)
	v_pk_mul_f32 v[92:93], v[76:77], v[56:57] op_sel_hi:[1,0]
	ds_read2_b64 v[56:59], v101 offset0:104 offset1:117
	v_pk_fma_f32 v[94:95], v[76:77], v[46:47], v[92:93] op_sel:[0,0,1] op_sel_hi:[1,1,0] neg_lo:[0,0,1] neg_hi:[0,0,1]
	v_pk_fma_f32 v[76:77], v[76:77], v[46:47], v[92:93] op_sel:[0,0,1] op_sel_hi:[1,0,0]
	s_waitcnt lgkmcnt(0)
	v_pk_mul_f32 v[92:93], v[56:57], v[40:41] op_sel:[0,1]
	s_nop 0
	v_pk_fma_f32 v[96:97], v[56:57], v[40:41], v[92:93] op_sel:[0,0,1] op_sel_hi:[1,1,0] neg_lo:[0,0,1] neg_hi:[0,0,1]
	v_pk_fma_f32 v[56:57], v[56:57], v[40:41], v[92:93] op_sel:[0,0,1] op_sel_hi:[1,0,0]
	v_pk_mul_f32 v[118:119], v[58:59], v[36:37] op_sel:[0,1]
	v_mov_b32_e32 v56, v43
	v_mov_b32_e32 v97, v57
	v_pk_mul_f32 v[56:57], v[78:79], v[56:57] op_sel_hi:[1,0]
	v_pk_fma_f32 v[120:121], v[58:59], v[36:37], v[118:119] op_sel:[0,0,1] op_sel_hi:[1,1,0] neg_lo:[0,0,1] neg_hi:[0,0,1]
	v_pk_fma_f32 v[92:93], v[78:79], v[42:43], v[56:57] op_sel:[0,0,1] op_sel_hi:[1,1,0] neg_lo:[0,0,1] neg_hi:[0,0,1]
	v_pk_fma_f32 v[56:57], v[78:79], v[42:43], v[56:57] op_sel:[0,0,1] op_sel_hi:[1,0,0]
	v_pk_fma_f32 v[58:59], v[58:59], v[36:37], v[118:119] op_sel:[0,0,1] op_sel_hi:[1,0,0]
	v_mov_b32_e32 v93, v57
	v_pk_add_f32 v[56:57], v[74:75], v[96:97]
	v_mov_b32_e32 v58, v39
	v_pk_add_f32 v[78:79], v[56:57], v[92:93]
	ds_read_b64 v[56:57], v101 offset:1456
	v_mov_b32_e32 v121, v59
	v_mov_b32_e32 v95, v77
	v_pk_add_f32 v[76:77], v[72:73], v[90:91]
	s_waitcnt lgkmcnt(0)
	v_pk_mul_f32 v[58:59], v[56:57], v[58:59] op_sel_hi:[1,0]
	s_nop 0
	v_pk_fma_f32 v[118:119], v[56:57], v[38:39], v[58:59] op_sel:[0,0,1] op_sel_hi:[1,1,0] neg_lo:[0,0,1] neg_hi:[0,0,1]
	v_pk_fma_f32 v[56:57], v[56:57], v[38:39], v[58:59] op_sel:[0,0,1] op_sel_hi:[1,0,0]
	v_pk_add_f32 v[76:77], v[76:77], v[94:95]
	v_mov_b32_e32 v119, v57
	v_pk_add_f32 v[56:57], v[120:121], v[118:119]
	v_pk_add_f32 v[58:59], v[120:121], v[118:119] neg_lo:[0,1] neg_hi:[0,1]
	v_pk_fma_f32 v[56:57], v[56:57], 0.5, v[62:63] op_sel_hi:[1,0,1] neg_lo:[1,0,0] neg_hi:[1,0,0]
	v_pk_add_f32 v[62:63], v[62:63], v[120:121]
	v_pk_mul_f32 v[120:121], v[64:65], v[52:53] op_sel:[0,1]
	v_pk_mul_f32 v[58:59], v[58:59], s[0:1] op_sel_hi:[1,0]
	v_pk_fma_f32 v[122:123], v[64:65], v[52:53], v[120:121] op_sel:[0,0,1] op_sel_hi:[1,1,0] neg_lo:[0,0,1] neg_hi:[0,0,1]
	v_pk_fma_f32 v[64:65], v[64:65], v[52:53], v[120:121] op_sel:[0,0,1] op_sel_hi:[1,0,0]
	v_pk_add_f32 v[62:63], v[62:63], v[118:119]
	v_mov_b32_e32 v123, v65
	v_pk_mul_f32 v[64:65], v[70:71], v[60:61] op_sel_hi:[1,0]
	v_pk_add_f32 v[118:119], v[56:57], v[58:59] op_sel:[0,1] op_sel_hi:[1,0]
	v_pk_fma_f32 v[120:121], v[70:71], v[54:55], v[64:65] op_sel:[0,0,1] op_sel_hi:[1,1,0] neg_lo:[0,0,1] neg_hi:[0,0,1]
	v_pk_fma_f32 v[64:65], v[70:71], v[54:55], v[64:65] op_sel:[0,0,1] op_sel_hi:[1,0,0]
	v_pk_add_f32 v[58:59], v[56:57], v[58:59] op_sel:[0,1] op_sel_hi:[1,0] neg_lo:[0,1] neg_hi:[0,1]
	v_mov_b32_e32 v121, v65
	v_pk_add_f32 v[64:65], v[122:123], v[120:121]
	v_pk_add_f32 v[70:71], v[122:123], v[120:121] neg_lo:[0,1] neg_hi:[0,1]
	v_pk_fma_f32 v[64:65], v[64:65], 0.5, v[66:67] op_sel_hi:[1,0,1] neg_lo:[1,0,0] neg_hi:[1,0,0]
	v_pk_mul_f32 v[70:71], v[70:71], s[0:1] op_sel_hi:[1,0]
	v_pk_add_f32 v[66:67], v[66:67], v[122:123]
	v_pk_add_f32 v[124:125], v[64:65], v[70:71] op_sel:[0,1] op_sel_hi:[1,0]
	v_pk_add_f32 v[64:65], v[64:65], v[70:71] op_sel:[0,1] op_sel_hi:[1,0] neg_lo:[0,1] neg_hi:[0,1]
	v_pk_add_f32 v[70:71], v[80:81], v[82:83]
	v_pk_add_f32 v[66:67], v[66:67], v[120:121]
	v_pk_fma_f32 v[68:69], v[70:71], 0.5, v[68:69] op_sel_hi:[1,0,1] neg_lo:[1,0,0] neg_hi:[1,0,0]
	v_pk_add_f32 v[70:71], v[80:81], v[82:83] neg_lo:[0,1] neg_hi:[0,1]
	ds_write_b64 v101, v[66:67]
	v_pk_mul_f32 v[70:71], v[70:71], s[0:1] op_sel_hi:[1,0]
	v_mov_b32_e32 v66, v124
	v_pk_add_f32 v[80:81], v[68:69], v[70:71] op_sel:[0,1] op_sel_hi:[1,0]
	v_pk_add_f32 v[68:69], v[68:69], v[70:71] op_sel:[0,1] op_sel_hi:[1,0] neg_lo:[0,1] neg_hi:[0,1]
	v_mov_b32_e32 v67, v65
	v_mov_b32_e32 v65, v125
	;; [unrolled: 1-line block ×5, first 2 shown]
	ds_write2_b64 v85, v[66:67], v[70:71] offset0:65 offset1:78
	ds_write2_b64 v85, v[64:65], v[68:69] offset0:130 offset1:143
	;; [unrolled: 1-line block ×3, first 2 shown]
	v_pk_add_f32 v[64:65], v[90:91], v[94:95]
	v_pk_add_f32 v[66:67], v[90:91], v[94:95] neg_lo:[0,1] neg_hi:[0,1]
	v_pk_fma_f32 v[64:65], v[64:65], 0.5, v[72:73] op_sel_hi:[1,0,1] neg_lo:[1,0,0] neg_hi:[1,0,0]
	v_pk_mul_f32 v[66:67], v[66:67], s[0:1] op_sel_hi:[1,0]
	v_pk_add_f32 v[70:71], v[96:97], v[92:93] neg_lo:[0,1] neg_hi:[0,1]
	v_pk_add_f32 v[68:69], v[64:65], v[66:67] op_sel:[0,1] op_sel_hi:[1,0]
	v_pk_add_f32 v[64:65], v[64:65], v[66:67] op_sel:[0,1] op_sel_hi:[1,0] neg_lo:[0,1] neg_hi:[0,1]
	v_mov_b32_e32 v66, v68
	v_mov_b32_e32 v67, v65
	;; [unrolled: 1-line block ×3, first 2 shown]
	v_pk_add_f32 v[68:69], v[96:97], v[92:93]
	v_pk_mul_f32 v[70:71], v[70:71], s[0:1] op_sel_hi:[1,0]
	v_pk_fma_f32 v[68:69], v[68:69], 0.5, v[74:75] op_sel_hi:[1,0,1] neg_lo:[1,0,0] neg_hi:[1,0,0]
	v_mov_b32_e32 v56, v118
	v_pk_add_f32 v[72:73], v[68:69], v[70:71] op_sel:[0,1] op_sel_hi:[1,0]
	v_pk_add_f32 v[68:69], v[68:69], v[70:71] op_sel:[0,1] op_sel_hi:[1,0] neg_lo:[0,1] neg_hi:[0,1]
	v_mov_b32_e32 v57, v59
	v_mov_b32_e32 v70, v72
	;; [unrolled: 1-line block ×5, first 2 shown]
	ds_write2_b64 v85, v[66:67], v[70:71] offset0:91 offset1:104
	ds_write2_b64 v85, v[64:65], v[68:69] offset0:156 offset1:169
	;; [unrolled: 1-line block ×4, first 2 shown]
	s_waitcnt lgkmcnt(0)
	; wave barrier
	s_waitcnt lgkmcnt(0)
	global_load_dwordx2 v[66:67], v[86:87], off offset:1560
	v_lshlrev_b32_e32 v60, 3, v84
	global_load_dwordx2 v[70:71], v60, s[8:9] offset:120
	global_load_dwordx2 v[72:73], v60, s[8:9] offset:240
	;; [unrolled: 1-line block ×12, first 2 shown]
	ds_read2_b64 v[62:65], v101 offset1:15
	s_waitcnt vmcnt(12) lgkmcnt(0)
	v_mul_f32_e32 v68, v63, v67
	v_mul_f32_e32 v119, v62, v67
	v_fma_f32 v118, v62, v66, -v68
	v_fmac_f32_e32 v119, v63, v66
	ds_read2_b64 v[66:69], v101 offset0:30 offset1:45
	s_waitcnt vmcnt(11)
	v_mul_f32_e32 v62, v65, v71
	v_mul_f32_e32 v63, v64, v71
	v_fma_f32 v62, v64, v70, -v62
	v_fmac_f32_e32 v63, v65, v70
	ds_write2_b64 v101, v[118:119], v[62:63] offset1:15
	s_waitcnt vmcnt(10) lgkmcnt(1)
	v_mul_f32_e32 v62, v67, v73
	v_fma_f32 v70, v66, v72, -v62
	ds_read2_b64 v[62:65], v101 offset0:60 offset1:75
	v_mul_f32_e32 v71, v66, v73
	v_fmac_f32_e32 v71, v67, v72
	s_waitcnt vmcnt(9)
	v_mul_f32_e32 v66, v69, v75
	v_mul_f32_e32 v67, v68, v75
	v_fma_f32 v66, v68, v74, -v66
	v_fmac_f32_e32 v67, v69, v74
	ds_write2_b64 v101, v[70:71], v[66:67] offset0:30 offset1:45
	s_waitcnt vmcnt(8) lgkmcnt(1)
	v_mul_f32_e32 v66, v63, v77
	v_fma_f32 v70, v62, v76, -v66
	ds_read2_b64 v[66:69], v101 offset0:90 offset1:105
	v_mul_f32_e32 v71, v62, v77
	v_fmac_f32_e32 v71, v63, v76
	s_waitcnt vmcnt(7)
	v_mul_f32_e32 v62, v65, v79
	v_mul_f32_e32 v63, v64, v79
	v_fma_f32 v62, v64, v78, -v62
	v_fmac_f32_e32 v63, v65, v78
	ds_write2_b64 v101, v[70:71], v[62:63] offset0:60 offset1:75
	;; [unrolled: 12-line block ×3, first 2 shown]
	s_waitcnt vmcnt(4) lgkmcnt(1)
	v_mul_f32_e32 v66, v63, v89
	v_fma_f32 v70, v62, v88, -v66
	ds_read2_b64 v[66:69], v101 offset0:150 offset1:165
	v_mul_f32_e32 v71, v62, v89
	v_fmac_f32_e32 v71, v63, v88
	s_waitcnt vmcnt(3)
	v_mul_f32_e32 v62, v65, v91
	v_mul_f32_e32 v63, v64, v91
	v_fma_f32 v62, v64, v90, -v62
	v_fmac_f32_e32 v63, v65, v90
	ds_read_b64 v[64:65], v101 offset:1440
	ds_write2_b64 v101, v[70:71], v[62:63] offset0:120 offset1:135
	s_waitcnt vmcnt(2) lgkmcnt(2)
	v_mul_f32_e32 v62, v67, v93
	v_mul_f32_e32 v63, v66, v93
	v_fma_f32 v62, v66, v92, -v62
	v_fmac_f32_e32 v63, v67, v92
	s_waitcnt vmcnt(1)
	v_mul_f32_e32 v66, v69, v95
	v_mul_f32_e32 v67, v68, v95
	v_fma_f32 v66, v68, v94, -v66
	v_fmac_f32_e32 v67, v69, v94
	ds_write2_b64 v101, v[62:63], v[66:67] offset0:150 offset1:165
	s_waitcnt vmcnt(0) lgkmcnt(2)
	v_mul_f32_e32 v62, v65, v97
	v_mul_f32_e32 v63, v64, v97
	v_fma_f32 v62, v64, v96, -v62
	v_fmac_f32_e32 v63, v65, v96
	ds_write_b64 v101, v[62:63] offset:1440
	s_and_saveexec_b64 s[0:1], vcc
	s_cbranch_execz .LBB0_9
; %bb.8:
	v_lshl_add_u64 v[60:61], s[8:9], 0, v[60:61]
	global_load_dwordx2 v[62:63], v[60:61], off offset:104
	global_load_dwordx2 v[88:89], v[60:61], off offset:224
	;; [unrolled: 1-line block ×13, first 2 shown]
	ds_read_b64 v[60:61], v85 offset:104
	s_waitcnt vmcnt(12) lgkmcnt(0)
	v_mul_f32_e32 v64, v61, v63
	v_mul_f32_e32 v65, v60, v63
	v_fma_f32 v64, v60, v62, -v64
	v_fmac_f32_e32 v65, v61, v62
	ds_write_b64 v85, v[64:65] offset:104
	ds_read2_b64 v[60:63], v101 offset0:28 offset1:43
	ds_read2_b64 v[64:67], v101 offset0:58 offset1:73
	;; [unrolled: 1-line block ×6, first 2 shown]
	s_waitcnt vmcnt(11) lgkmcnt(5)
	v_mul_f32_e32 v98, v61, v89
	v_mul_f32_e32 v133, v60, v89
	s_waitcnt vmcnt(10)
	v_mul_f32_e32 v99, v63, v91
	v_mul_f32_e32 v89, v62, v91
	s_waitcnt vmcnt(9) lgkmcnt(4)
	v_mul_f32_e32 v102, v65, v93
	v_mul_f32_e32 v91, v64, v93
	s_waitcnt vmcnt(8)
	v_mul_f32_e32 v103, v67, v95
	v_mul_f32_e32 v93, v66, v95
	;; [unrolled: 6-line block ×6, first 2 shown]
	v_fma_f32 v132, v60, v88, -v98
	v_fmac_f32_e32 v133, v61, v88
	v_fma_f32 v88, v62, v90, -v99
	v_fmac_f32_e32 v89, v63, v90
	;; [unrolled: 2-line block ×12, first 2 shown]
	ds_write2_b64 v101, v[132:133], v[88:89] offset0:28 offset1:43
	ds_write2_b64 v101, v[90:91], v[92:93] offset0:58 offset1:73
	;; [unrolled: 1-line block ×6, first 2 shown]
.LBB0_9:
	s_or_b64 exec, exec, s[0:1]
	s_waitcnt lgkmcnt(0)
	; wave barrier
	s_waitcnt lgkmcnt(0)
	ds_read2_b64 v[60:63], v101 offset1:15
	ds_read2_b64 v[76:79], v101 offset0:30 offset1:45
	ds_read2_b64 v[68:71], v101 offset0:60 offset1:75
	;; [unrolled: 1-line block ×5, first 2 shown]
	ds_read_b64 v[154:155], v101 offset:1440
	s_and_saveexec_b64 s[0:1], vcc
	s_cbranch_execz .LBB0_11
; %bb.10:
	ds_read2_b64 v[56:59], v85 offset0:13 offset1:28
	ds_read2_b64 v[0:3], v85 offset0:43 offset1:58
	;; [unrolled: 1-line block ×6, first 2 shown]
	ds_read_b64 a[30:31], v85 offset:1544
.LBB0_11:
	s_or_b64 exec, exec, s[0:1]
	v_add_u32_e32 v88, 0x1a0, v101
	v_accvgpr_write_b32 a32, v88
	s_waitcnt lgkmcnt(6)
	v_pk_add_f32 v[88:89], v[60:61], v[62:63]
	s_waitcnt lgkmcnt(0)
	v_pk_add_f32 v[92:93], v[62:63], v[154:155] neg_lo:[0,1] neg_hi:[0,1]
	v_pk_add_f32 v[88:89], v[88:89], v[76:77]
	s_mov_b32 s40, 0xbeedf032
	v_pk_add_f32 v[88:89], v[88:89], v[78:79]
	v_pk_add_f32 v[90:91], v[154:155], v[62:63]
	;; [unrolled: 1-line block ×3, first 2 shown]
	s_mov_b32 s0, 0x3f62ad3f
	v_pk_add_f32 v[88:89], v[88:89], v[70:71]
	v_pk_mul_f32 v[94:95], v[92:93], s[40:41] op_sel_hi:[1,0]
	v_pk_add_f32 v[88:89], v[88:89], v[64:65]
	v_pk_add_f32 v[184:185], v[76:77], v[82:83] neg_lo:[0,1] neg_hi:[0,1]
	v_pk_add_f32 v[88:89], v[88:89], v[66:67]
	s_mov_b32 s20, 0xbf52af12
	v_pk_add_f32 v[88:89], v[88:89], v[72:73]
	v_pk_fma_f32 v[62:63], v[90:91], s[0:1], v[94:95] op_sel:[0,0,1] op_sel_hi:[1,0,0]
	v_pk_add_f32 v[88:89], v[88:89], v[74:75]
	v_pk_add_f32 v[96:97], v[82:83], v[76:77]
	;; [unrolled: 1-line block ×3, first 2 shown]
	s_mov_b32 s8, 0x3f116cb1
	v_pk_add_f32 v[88:89], v[88:89], v[82:83]
	v_pk_mul_f32 v[82:83], v[184:185], s[20:21] op_sel_hi:[1,0]
	v_pk_add_f32 v[88:89], v[88:89], v[154:155]
	v_pk_fma_f32 v[154:155], v[90:91], s[0:1], v[94:95] op_sel:[0,0,1] op_sel_hi:[1,0,0] neg_lo:[0,0,1] neg_hi:[0,0,1]
	v_pk_add_f32 v[188:189], v[78:79], v[80:81] neg_lo:[0,1] neg_hi:[0,1]
	s_mov_b32 s28, 0xbf7e222b
	v_mov_b32_e32 v94, v62
	v_mov_b32_e32 v95, v155
	v_pk_fma_f32 v[76:77], v[96:97], s[8:9], v[82:83] op_sel:[0,0,1] op_sel_hi:[1,0,0]
	v_pk_fma_f32 v[82:83], v[96:97], s[8:9], v[82:83] op_sel:[0,0,1] op_sel_hi:[1,0,0] neg_lo:[0,0,1] neg_hi:[0,0,1]
	v_pk_add_f32 v[186:187], v[80:81], v[78:79]
	s_mov_b32 s10, 0x3df6dbef
	v_pk_mul_f32 v[80:81], v[188:189], s[28:29] op_sel_hi:[1,0]
	v_pk_add_f32 v[194:195], v[68:69], v[74:75] neg_lo:[0,1] neg_hi:[0,1]
	s_mov_b32 s14, 0xbf6f5d39
	v_pk_add_f32 v[94:95], v[60:61], v[94:95]
	v_mov_b32_e32 v156, v76
	v_mov_b32_e32 v157, v83
	v_pk_fma_f32 v[78:79], v[186:187], s[10:11], v[80:81] op_sel:[0,0,1] op_sel_hi:[1,0,0]
	v_pk_fma_f32 v[80:81], v[186:187], s[10:11], v[80:81] op_sel:[0,0,1] op_sel_hi:[1,0,0] neg_lo:[0,0,1] neg_hi:[0,0,1]
	v_pk_add_f32 v[190:191], v[74:75], v[68:69]
	s_mov_b32 s12, 0xbeb58ec6
	v_pk_mul_f32 v[74:75], v[194:195], s[14:15] op_sel_hi:[1,0]
	v_pk_add_f32 v[198:199], v[70:71], v[72:73] neg_lo:[0,1] neg_hi:[0,1]
	s_mov_b32 s18, 0xbf29c268
	v_pk_add_f32 v[94:95], v[156:157], v[94:95]
	;; [unrolled: 10-line block ×3, first 2 shown]
	v_mov_b32_e32 v156, v68
	v_mov_b32_e32 v157, v75
	v_pk_fma_f32 v[70:71], v[196:197], s[16:17], v[72:73] op_sel:[0,0,1] op_sel_hi:[1,0,0]
	v_pk_fma_f32 v[72:73], v[196:197], s[16:17], v[72:73] op_sel:[0,0,1] op_sel_hi:[1,0,0] neg_lo:[0,0,1] neg_hi:[0,0,1]
	v_pk_add_f32 v[200:201], v[66:67], v[64:65]
	s_mov_b32 s22, 0xbf788fa5
	v_pk_mul_f32 v[66:67], v[202:203], s[24:25] op_sel_hi:[1,0]
	v_pk_add_f32 v[94:95], v[156:157], v[94:95]
	v_mov_b32_e32 v156, v70
	v_mov_b32_e32 v157, v73
	v_pk_fma_f32 v[64:65], v[200:201], s[22:23], v[66:67] op_sel:[0,0,1] op_sel_hi:[1,0,0]
	v_pk_fma_f32 v[66:67], v[200:201], s[22:23], v[66:67] op_sel:[0,0,1] op_sel_hi:[1,0,0] neg_lo:[0,0,1] neg_hi:[0,0,1]
	v_pk_add_f32 v[94:95], v[156:157], v[94:95]
	v_mov_b32_e32 v156, v64
	v_mov_b32_e32 v157, v67
	v_pk_add_f32 v[94:95], v[156:157], v[94:95]
	s_waitcnt lgkmcnt(0)
	; wave barrier
	ds_write2_b64 v193, v[88:89], v[94:95] offset1:1
	v_pk_mul_f32 v[88:89], v[92:93], s[20:21] op_sel_hi:[1,0]
	v_pk_mul_f32 v[94:95], v[184:185], s[14:15] op_sel_hi:[1,0]
	v_pk_fma_f32 v[156:157], v[90:91], s[8:9], v[88:89] op_sel:[0,0,1] op_sel_hi:[1,0,0]
	v_pk_fma_f32 v[158:159], v[90:91], s[8:9], v[88:89] op_sel:[0,0,1] op_sel_hi:[1,0,0] neg_lo:[0,0,1] neg_hi:[0,0,1]
	v_mov_b32_e32 v88, v156
	v_mov_b32_e32 v89, v159
	v_pk_fma_f32 v[160:161], v[96:97], s[12:13], v[94:95] op_sel:[0,0,1] op_sel_hi:[1,0,0]
	v_pk_fma_f32 v[162:163], v[96:97], s[12:13], v[94:95] op_sel:[0,0,1] op_sel_hi:[1,0,0] neg_lo:[0,0,1] neg_hi:[0,0,1]
	v_pk_add_f32 v[88:89], v[60:61], v[88:89]
	v_mov_b32_e32 v94, v160
	v_mov_b32_e32 v95, v163
	v_pk_add_f32 v[88:89], v[94:95], v[88:89]
	v_pk_mul_f32 v[94:95], v[188:189], s[24:25] op_sel_hi:[1,0]
	s_mov_b32 s34, 0x3f29c268
	v_pk_fma_f32 v[164:165], v[186:187], s[22:23], v[94:95] op_sel:[0,0,1] op_sel_hi:[1,0,0]
	v_pk_fma_f32 v[166:167], v[186:187], s[22:23], v[94:95] op_sel:[0,0,1] op_sel_hi:[1,0,0] neg_lo:[0,0,1] neg_hi:[0,0,1]
	v_mov_b32_e32 v94, v164
	v_mov_b32_e32 v95, v167
	v_pk_add_f32 v[88:89], v[94:95], v[88:89]
	v_pk_mul_f32 v[94:95], v[194:195], s[34:35] op_sel_hi:[1,0]
	s_mov_b32 s26, 0x3f7e222b
	v_pk_fma_f32 v[168:169], v[190:191], s[16:17], v[94:95] op_sel:[0,0,1] op_sel_hi:[1,0,0]
	v_pk_fma_f32 v[170:171], v[190:191], s[16:17], v[94:95] op_sel:[0,0,1] op_sel_hi:[1,0,0] neg_lo:[0,0,1] neg_hi:[0,0,1]
	;; [unrolled: 7-line block ×3, first 2 shown]
	v_mov_b32_e32 v94, v172
	v_mov_b32_e32 v95, v175
	v_pk_add_f32 v[88:89], v[94:95], v[88:89]
	v_pk_mul_f32 v[94:95], v[202:203], s[30:31] op_sel_hi:[1,0]
	v_pk_mul_f32 v[208:209], v[184:185], s[24:25] op_sel_hi:[1,0]
	v_pk_fma_f32 v[176:177], v[200:201], s[0:1], v[94:95] op_sel:[0,0,1] op_sel_hi:[1,0,0]
	v_pk_fma_f32 v[178:179], v[200:201], s[0:1], v[94:95] op_sel:[0,0,1] op_sel_hi:[1,0,0] neg_lo:[0,0,1] neg_hi:[0,0,1]
	v_mov_b32_e32 v94, v176
	v_mov_b32_e32 v95, v179
	v_pk_add_f32 v[88:89], v[94:95], v[88:89]
	v_pk_mul_f32 v[94:95], v[92:93], s[28:29] op_sel_hi:[1,0]
	v_pk_fma_f32 v[210:211], v[96:97], s[22:23], v[208:209] op_sel:[0,0,1] op_sel_hi:[1,0,0]
	v_pk_fma_f32 v[204:205], v[90:91], s[10:11], v[94:95] op_sel:[0,0,1] op_sel_hi:[1,0,0]
	v_pk_fma_f32 v[94:95], v[90:91], s[10:11], v[94:95] op_sel:[0,0,1] op_sel_hi:[1,0,0] neg_lo:[0,0,1] neg_hi:[0,0,1]
	v_mov_b32_e32 v206, v204
	v_mov_b32_e32 v207, v95
	v_pk_fma_f32 v[208:209], v[96:97], s[22:23], v[208:209] op_sel:[0,0,1] op_sel_hi:[1,0,0] neg_lo:[0,0,1] neg_hi:[0,0,1]
	v_pk_add_f32 v[206:207], v[60:61], v[206:207]
	v_mov_b32_e32 v212, v210
	v_mov_b32_e32 v213, v209
	s_mov_b32 s42, 0x3f6f5d39
	v_pk_add_f32 v[206:207], v[212:213], v[206:207]
	v_pk_mul_f32 v[212:213], v[188:189], s[42:43] op_sel_hi:[1,0]
	v_pk_mul_f32 v[230:231], v[184:185], s[34:35] op_sel_hi:[1,0]
	v_pk_fma_f32 v[214:215], v[186:187], s[12:13], v[212:213] op_sel:[0,0,1] op_sel_hi:[1,0,0]
	v_pk_fma_f32 v[212:213], v[186:187], s[12:13], v[212:213] op_sel:[0,0,1] op_sel_hi:[1,0,0] neg_lo:[0,0,1] neg_hi:[0,0,1]
	v_mov_b32_e32 v216, v214
	v_mov_b32_e32 v217, v213
	v_pk_add_f32 v[206:207], v[216:217], v[206:207]
	v_pk_mul_f32 v[216:217], v[194:195], s[30:31] op_sel_hi:[1,0]
	v_pk_fma_f32 v[232:233], v[96:97], s[16:17], v[230:231] op_sel:[0,0,1] op_sel_hi:[1,0,0]
	v_pk_fma_f32 v[218:219], v[190:191], s[0:1], v[216:217] op_sel:[0,0,1] op_sel_hi:[1,0,0]
	v_pk_fma_f32 v[216:217], v[190:191], s[0:1], v[216:217] op_sel:[0,0,1] op_sel_hi:[1,0,0] neg_lo:[0,0,1] neg_hi:[0,0,1]
	v_mov_b32_e32 v220, v218
	v_mov_b32_e32 v221, v217
	v_pk_add_f32 v[206:207], v[220:221], v[206:207]
	v_pk_mul_f32 v[220:221], v[198:199], s[20:21] op_sel_hi:[1,0]
	v_pk_fma_f32 v[230:231], v[96:97], s[16:17], v[230:231] op_sel:[0,0,1] op_sel_hi:[1,0,0] neg_lo:[0,0,1] neg_hi:[0,0,1]
	v_pk_fma_f32 v[222:223], v[196:197], s[8:9], v[220:221] op_sel:[0,0,1] op_sel_hi:[1,0,0]
	v_pk_fma_f32 v[220:221], v[196:197], s[8:9], v[220:221] op_sel:[0,0,1] op_sel_hi:[1,0,0] neg_lo:[0,0,1] neg_hi:[0,0,1]
	v_mov_b32_e32 v224, v222
	v_mov_b32_e32 v225, v221
	v_pk_add_f32 v[206:207], v[224:225], v[206:207]
	v_pk_mul_f32 v[224:225], v[202:203], s[18:19] op_sel_hi:[1,0]
	v_mov_b32_e32 v234, v232
	v_pk_fma_f32 v[226:227], v[200:201], s[16:17], v[224:225] op_sel:[0,0,1] op_sel_hi:[1,0,0]
	v_pk_fma_f32 v[224:225], v[200:201], s[16:17], v[224:225] op_sel:[0,0,1] op_sel_hi:[1,0,0] neg_lo:[0,0,1] neg_hi:[0,0,1]
	v_mov_b32_e32 v228, v226
	v_mov_b32_e32 v229, v225
	v_pk_add_f32 v[206:207], v[228:229], v[206:207]
	ds_write2_b64 v193, v[88:89], v[206:207] offset0:2 offset1:3
	v_pk_mul_f32 v[88:89], v[92:93], s[14:15] op_sel_hi:[1,0]
	v_mov_b32_e32 v235, v231
	v_pk_fma_f32 v[206:207], v[90:91], s[12:13], v[88:89] op_sel:[0,0,1] op_sel_hi:[1,0,0]
	v_pk_fma_f32 v[88:89], v[90:91], s[12:13], v[88:89] op_sel:[0,0,1] op_sel_hi:[1,0,0] neg_lo:[0,0,1] neg_hi:[0,0,1]
	v_mov_b32_e32 v228, v206
	v_mov_b32_e32 v229, v89
	v_pk_add_f32 v[228:229], v[60:61], v[228:229]
	s_mov_b32 s38, 0x3e750f2a
	v_pk_add_f32 v[228:229], v[234:235], v[228:229]
	v_pk_mul_f32 v[234:235], v[188:189], s[30:31] op_sel_hi:[1,0]
	s_mov_b32 s36, 0x3f52af12
	v_pk_fma_f32 v[236:237], v[186:187], s[0:1], v[234:235] op_sel:[0,0,1] op_sel_hi:[1,0,0]
	v_pk_fma_f32 v[234:235], v[186:187], s[0:1], v[234:235] op_sel:[0,0,1] op_sel_hi:[1,0,0] neg_lo:[0,0,1] neg_hi:[0,0,1]
	v_mov_b32_e32 v238, v236
	v_mov_b32_e32 v239, v235
	v_pk_add_f32 v[228:229], v[238:239], v[228:229]
	v_pk_mul_f32 v[238:239], v[194:195], s[28:29] op_sel_hi:[1,0]
	v_pk_mul_f32 v[182:183], v[184:185], s[26:27] op_sel_hi:[1,0]
	v_pk_fma_f32 v[240:241], v[190:191], s[10:11], v[238:239] op_sel:[0,0,1] op_sel_hi:[1,0,0]
	v_pk_fma_f32 v[238:239], v[190:191], s[10:11], v[238:239] op_sel:[0,0,1] op_sel_hi:[1,0,0] neg_lo:[0,0,1] neg_hi:[0,0,1]
	v_mov_b32_e32 v242, v240
	v_mov_b32_e32 v243, v239
	v_pk_add_f32 v[228:229], v[242:243], v[228:229]
	v_pk_mul_f32 v[242:243], v[198:199], s[38:39] op_sel_hi:[1,0]
	v_pk_fma_f32 v[98:99], v[96:97], s[10:11], v[182:183] op_sel:[0,0,1] op_sel_hi:[1,0,0]
	v_pk_fma_f32 v[244:245], v[196:197], s[22:23], v[242:243] op_sel:[0,0,1] op_sel_hi:[1,0,0]
	v_pk_fma_f32 v[242:243], v[196:197], s[22:23], v[242:243] op_sel:[0,0,1] op_sel_hi:[1,0,0] neg_lo:[0,0,1] neg_hi:[0,0,1]
	v_mov_b32_e32 v246, v244
	v_mov_b32_e32 v247, v243
	v_pk_add_f32 v[228:229], v[246:247], v[228:229]
	v_pk_mul_f32 v[246:247], v[202:203], s[36:37] op_sel_hi:[1,0]
	v_pk_fma_f32 v[182:183], v[96:97], s[10:11], v[182:183] op_sel:[0,0,1] op_sel_hi:[1,0,0] neg_lo:[0,0,1] neg_hi:[0,0,1]
	v_pk_fma_f32 v[248:249], v[200:201], s[8:9], v[246:247] op_sel:[0,0,1] op_sel_hi:[1,0,0]
	v_pk_fma_f32 v[246:247], v[200:201], s[8:9], v[246:247] op_sel:[0,0,1] op_sel_hi:[1,0,0] neg_lo:[0,0,1] neg_hi:[0,0,1]
	v_mov_b32_e32 v250, v248
	v_mov_b32_e32 v251, v247
	v_pk_add_f32 v[228:229], v[250:251], v[228:229]
	v_pk_mul_f32 v[250:251], v[92:93], s[18:19] op_sel_hi:[1,0]
	v_mov_b32_e32 v180, v98
	v_pk_fma_f32 v[252:253], v[90:91], s[16:17], v[250:251] op_sel:[0,0,1] op_sel_hi:[1,0,0]
	v_pk_fma_f32 v[250:251], v[90:91], s[16:17], v[250:251] op_sel:[0,0,1] op_sel_hi:[1,0,0] neg_lo:[0,0,1] neg_hi:[0,0,1]
	v_mov_b32_e32 v254, v252
	v_mov_b32_e32 v255, v251
	v_pk_add_f32 v[254:255], v[60:61], v[254:255]
	v_mov_b32_e32 v181, v183
	v_pk_add_f32 v[180:181], v[180:181], v[254:255]
	v_pk_mul_f32 v[254:255], v[188:189], s[20:21] op_sel_hi:[1,0]
	v_pk_mul_f32 v[92:93], v[92:93], s[24:25] op_sel_hi:[1,0]
	v_pk_fma_f32 v[102:103], v[186:187], s[8:9], v[254:255] op_sel:[0,0,1] op_sel_hi:[1,0,0]
	v_pk_fma_f32 v[254:255], v[186:187], s[8:9], v[254:255] op_sel:[0,0,1] op_sel_hi:[1,0,0] neg_lo:[0,0,1] neg_hi:[0,0,1]
	v_mov_b32_e32 v116, v102
	v_mov_b32_e32 v117, v255
	v_pk_add_f32 v[116:117], v[116:117], v[180:181]
	v_pk_mul_f32 v[180:181], v[194:195], s[38:39] op_sel_hi:[1,0]
	v_mov_b32_e32 v251, v253
	v_pk_fma_f32 v[106:107], v[190:191], s[22:23], v[180:181] op_sel:[0,0,1] op_sel_hi:[1,0,0]
	v_pk_fma_f32 v[180:181], v[190:191], s[22:23], v[180:181] op_sel:[0,0,1] op_sel_hi:[1,0,0] neg_lo:[0,0,1] neg_hi:[0,0,1]
	v_mov_b32_e32 v104, v106
	v_mov_b32_e32 v105, v181
	v_pk_add_f32 v[104:105], v[104:105], v[116:117]
	v_pk_mul_f32 v[116:117], v[198:199], s[30:31] op_sel_hi:[1,0]
	v_mov_b32_e32 v89, v207
	;; [unrolled: 7-line block ×3, first 2 shown]
	v_pk_fma_f32 v[114:115], v[200:201], s[12:13], v[108:109] op_sel:[0,0,1] op_sel_hi:[1,0,0]
	v_pk_fma_f32 v[108:109], v[200:201], s[12:13], v[108:109] op_sel:[0,0,1] op_sel_hi:[1,0,0] neg_lo:[0,0,1] neg_hi:[0,0,1]
	v_mov_b32_e32 v112, v114
	v_mov_b32_e32 v113, v109
	v_pk_add_f32 v[104:105], v[112:113], v[104:105]
	ds_write2_b64 v193, v[228:229], v[104:105] offset0:4 offset1:5
	v_pk_fma_f32 v[104:105], v[90:91], s[22:23], v[92:93] op_sel:[0,0,1] op_sel_hi:[1,0,0]
	v_pk_fma_f32 v[90:91], v[90:91], s[22:23], v[92:93] op_sel:[0,0,1] op_sel_hi:[1,0,0] neg_lo:[0,0,1] neg_hi:[0,0,1]
	v_pk_mul_f32 v[112:113], v[184:185], s[30:31] op_sel_hi:[1,0]
	v_mov_b32_e32 v92, v104
	v_mov_b32_e32 v93, v91
	v_pk_fma_f32 v[184:185], v[96:97], s[0:1], v[112:113] op_sel:[0,0,1] op_sel_hi:[1,0,0]
	v_pk_fma_f32 v[96:97], v[96:97], s[0:1], v[112:113] op_sel:[0,0,1] op_sel_hi:[1,0,0] neg_lo:[0,0,1] neg_hi:[0,0,1]
	v_pk_add_f32 v[92:93], v[60:61], v[92:93]
	v_mov_b32_e32 v112, v184
	v_mov_b32_e32 v113, v97
	v_pk_add_f32 v[92:93], v[112:113], v[92:93]
	v_pk_mul_f32 v[112:113], v[188:189], s[18:19] op_sel_hi:[1,0]
	v_mov_b32_e32 v91, v105
	v_pk_fma_f32 v[188:189], v[186:187], s[16:17], v[112:113] op_sel:[0,0,1] op_sel_hi:[1,0,0]
	v_pk_fma_f32 v[112:113], v[186:187], s[16:17], v[112:113] op_sel:[0,0,1] op_sel_hi:[1,0,0] neg_lo:[0,0,1] neg_hi:[0,0,1]
	v_mov_b32_e32 v186, v188
	v_mov_b32_e32 v187, v113
	v_pk_add_f32 v[92:93], v[186:187], v[92:93]
	v_pk_mul_f32 v[186:187], v[194:195], s[36:37] op_sel_hi:[1,0]
	v_pk_add_f32 v[90:91], v[60:61], v[90:91]
	v_pk_fma_f32 v[194:195], v[190:191], s[8:9], v[186:187] op_sel:[0,0,1] op_sel_hi:[1,0,0]
	v_pk_fma_f32 v[186:187], v[190:191], s[8:9], v[186:187] op_sel:[0,0,1] op_sel_hi:[1,0,0] neg_lo:[0,0,1] neg_hi:[0,0,1]
	v_mov_b32_e32 v190, v194
	v_mov_b32_e32 v191, v187
	v_pk_add_f32 v[92:93], v[190:191], v[92:93]
	v_pk_mul_f32 v[190:191], v[198:199], s[14:15] op_sel_hi:[1,0]
	v_mov_b32_e32 v97, v185
	v_pk_fma_f32 v[198:199], v[196:197], s[12:13], v[190:191] op_sel:[0,0,1] op_sel_hi:[1,0,0]
	v_pk_fma_f32 v[190:191], v[196:197], s[12:13], v[190:191] op_sel:[0,0,1] op_sel_hi:[1,0,0] neg_lo:[0,0,1] neg_hi:[0,0,1]
	v_mov_b32_e32 v196, v198
	v_mov_b32_e32 v197, v191
	v_pk_add_f32 v[90:91], v[96:97], v[90:91]
	v_mov_b32_e32 v113, v189
	v_pk_add_f32 v[92:93], v[196:197], v[92:93]
	v_pk_mul_f32 v[196:197], v[202:203], s[26:27] op_sel_hi:[1,0]
	v_pk_add_f32 v[90:91], v[112:113], v[90:91]
	v_mov_b32_e32 v187, v195
	v_pk_fma_f32 v[202:203], v[200:201], s[10:11], v[196:197] op_sel:[0,0,1] op_sel_hi:[1,0,0]
	v_pk_fma_f32 v[196:197], v[200:201], s[10:11], v[196:197] op_sel:[0,0,1] op_sel_hi:[1,0,0] neg_lo:[0,0,1] neg_hi:[0,0,1]
	v_pk_add_f32 v[90:91], v[186:187], v[90:91]
	v_mov_b32_e32 v191, v199
	v_mov_b32_e32 v200, v202
	;; [unrolled: 1-line block ×3, first 2 shown]
	v_pk_add_f32 v[90:91], v[190:191], v[90:91]
	v_mov_b32_e32 v197, v203
	v_pk_add_f32 v[92:93], v[200:201], v[92:93]
	v_pk_add_f32 v[90:91], v[196:197], v[90:91]
	ds_write2_b64 v193, v[92:93], v[90:91] offset0:6 offset1:7
	v_pk_add_f32 v[90:91], v[60:61], v[250:251]
	v_pk_add_f32 v[88:89], v[60:61], v[88:89]
	v_mov_b32_e32 v231, v233
	v_pk_add_f32 v[90:91], v[182:183], v[90:91]
	v_mov_b32_e32 v255, v103
	;; [unrolled: 2-line block ×9, first 2 shown]
	v_pk_add_f32 v[90:91], v[108:109], v[90:91]
	v_pk_add_f32 v[88:89], v[246:247], v[88:89]
	v_mov_b32_e32 v95, v205
	v_mov_b32_e32 v159, v157
	v_mov_b32_e32 v155, v63
	ds_write2_b64 v193, v[90:91], v[88:89] offset0:8 offset1:9
	v_pk_add_f32 v[88:89], v[60:61], v[94:95]
	v_mov_b32_e32 v209, v211
	v_pk_add_f32 v[90:91], v[60:61], v[158:159]
	v_mov_b32_e32 v163, v161
	;; [unrolled: 2-line block ×15, first 2 shown]
	v_mov_b32_e32 v144, v24
	v_mov_b32_e32 v145, v24
	;; [unrolled: 1-line block ×54, first 2 shown]
	v_pk_add_f32 v[88:89], v[224:225], v[88:89]
	v_pk_add_f32 v[90:91], v[178:179], v[90:91]
	;; [unrolled: 1-line block ×3, first 2 shown]
	ds_write2_b64 v193, v[88:89], v[90:91] offset0:10 offset1:11
	ds_write_b64 v193, v[60:61] offset:96
	s_and_saveexec_b64 s[44:45], vcc
	s_cbranch_execz .LBB0_13
; %bb.12:
	v_pk_add_f32 v[60:61], v[58:59], v[56:57]
	v_accvgpr_read_b32 v65, a31
	v_pk_add_f32 v[60:61], v[0:1], v[60:61]
	v_accvgpr_read_b32 v64, a30
	v_pk_add_f32 v[60:61], v[2:3], v[60:61]
	v_pk_add_f32 v[90:91], v[58:59], v[64:65] neg_lo:[0,1] neg_hi:[0,1]
	v_pk_add_f32 v[60:61], v[8:9], v[60:61]
	v_pk_add_f32 v[88:89], v[64:65], v[58:59]
	v_pk_add_f32 v[60:61], v[10:11], v[60:61]
	v_pk_add_f32 v[96:97], v[4:5], v[2:3]
	v_pk_add_f32 v[60:61], v[16:17], v[60:61]
	v_pk_add_f32 v[98:99], v[2:3], v[4:5] neg_lo:[0,1] neg_hi:[0,1]
	v_pk_add_f32 v[60:61], v[18:19], v[60:61]
	v_pk_mul_f32 v[2:3], v[90:91], s[40:41] op_sel_hi:[1,0]
	v_pk_add_f32 v[60:61], v[12:13], v[60:61]
	v_pk_add_f32 v[92:93], v[6:7], v[0:1]
	;; [unrolled: 1-line block ×3, first 2 shown]
	v_pk_add_f32 v[94:95], v[0:1], v[6:7] neg_lo:[0,1] neg_hi:[0,1]
	v_pk_add_f32 v[60:61], v[4:5], v[60:61]
	v_pk_fma_f32 v[0:1], v[88:89], s[0:1], v[2:3] op_sel:[0,0,1] op_sel_hi:[1,0,0]
	v_pk_fma_f32 v[2:3], v[88:89], s[0:1], v[2:3] op_sel:[0,0,1] op_sel_hi:[1,0,0] neg_lo:[0,0,1] neg_hi:[0,0,1]
	v_pk_add_f32 v[60:61], v[6:7], v[60:61]
	v_mov_b32_e32 v4, v0
	v_mov_b32_e32 v5, v3
	v_pk_mul_f32 v[6:7], v[94:95], s[20:21] op_sel_hi:[1,0]
	v_pk_add_f32 v[102:103], v[14:15], v[8:9]
	v_pk_add_f32 v[104:105], v[8:9], v[14:15] neg_lo:[0,1] neg_hi:[0,1]
	v_pk_add_f32 v[8:9], v[56:57], v[4:5]
	v_pk_fma_f32 v[4:5], v[92:93], s[8:9], v[6:7] op_sel:[0,0,1] op_sel_hi:[1,0,0]
	v_pk_fma_f32 v[6:7], v[92:93], s[8:9], v[6:7] op_sel:[0,0,1] op_sel_hi:[1,0,0] neg_lo:[0,0,1] neg_hi:[0,0,1]
	v_pk_add_f32 v[106:107], v[12:13], v[10:11]
	v_pk_add_f32 v[108:109], v[10:11], v[12:13] neg_lo:[0,1] neg_hi:[0,1]
	v_mov_b32_e32 v10, v4
	v_mov_b32_e32 v11, v7
	v_pk_add_f32 v[12:13], v[10:11], v[8:9]
	v_pk_mul_f32 v[10:11], v[98:99], s[28:29] op_sel_hi:[1,0]
	v_pk_add_f32 v[154:155], v[18:19], v[16:17]
	v_pk_fma_f32 v[8:9], v[96:97], s[10:11], v[10:11] op_sel:[0,0,1] op_sel_hi:[1,0,0]
	v_pk_fma_f32 v[10:11], v[96:97], s[10:11], v[10:11] op_sel:[0,0,1] op_sel_hi:[1,0,0] neg_lo:[0,0,1] neg_hi:[0,0,1]
	v_mov_b32_e32 v14, v8
	v_mov_b32_e32 v15, v11
	v_pk_add_f32 v[110:111], v[16:17], v[18:19] neg_lo:[0,1] neg_hi:[0,1]
	v_pk_add_f32 v[16:17], v[14:15], v[12:13]
	v_pk_mul_f32 v[14:15], v[104:105], s[14:15] op_sel_hi:[1,0]
	v_accvgpr_read_b32 v62, a28
	v_pk_fma_f32 v[12:13], v[102:103], s[12:13], v[14:15] op_sel:[0,0,1] op_sel_hi:[1,0,0]
	v_pk_fma_f32 v[14:15], v[102:103], s[12:13], v[14:15] op_sel:[0,0,1] op_sel_hi:[1,0,0] neg_lo:[0,0,1] neg_hi:[0,0,1]
	v_mov_b32_e32 v18, v12
	v_mov_b32_e32 v19, v15
	v_pk_add_f32 v[58:59], v[18:19], v[16:17]
	v_pk_mul_f32 v[18:19], v[108:109], s[18:19] op_sel_hi:[1,0]
	v_accvgpr_read_b32 v63, a29
	v_pk_fma_f32 v[16:17], v[106:107], s[16:17], v[18:19] op_sel:[0,0,1] op_sel_hi:[1,0,0]
	v_pk_fma_f32 v[18:19], v[106:107], s[16:17], v[18:19] op_sel:[0,0,1] op_sel_hi:[1,0,0] neg_lo:[0,0,1] neg_hi:[0,0,1]
	v_lshl_add_u32 v193, v63, 3, v62
	v_pk_add_f32 v[62:63], v[64:65], v[60:61]
	v_mov_b32_e32 v60, v16
	v_mov_b32_e32 v61, v19
	v_pk_add_f32 v[64:65], v[60:61], v[58:59]
	v_pk_mul_f32 v[60:61], v[110:111], s[24:25] op_sel_hi:[1,0]
	v_pk_mul_f32 v[68:69], v[94:95], s[14:15] op_sel_hi:[1,0]
	v_pk_fma_f32 v[58:59], v[154:155], s[22:23], v[60:61] op_sel:[0,0,1] op_sel_hi:[1,0,0]
	v_pk_fma_f32 v[60:61], v[154:155], s[22:23], v[60:61] op_sel:[0,0,1] op_sel_hi:[1,0,0] neg_lo:[0,0,1] neg_hi:[0,0,1]
	v_mov_b32_e32 v66, v58
	v_mov_b32_e32 v67, v61
	v_pk_add_f32 v[64:65], v[66:67], v[64:65]
	ds_write2_b64 v193, v[62:63], v[64:65] offset1:1
	v_pk_mul_f32 v[64:65], v[90:91], s[20:21] op_sel_hi:[1,0]
	v_pk_mul_f32 v[114:115], v[110:111], s[30:31] op_sel_hi:[1,0]
	v_pk_fma_f32 v[62:63], v[88:89], s[8:9], v[64:65] op_sel:[0,0,1] op_sel_hi:[1,0,0]
	v_pk_fma_f32 v[64:65], v[88:89], s[8:9], v[64:65] op_sel:[0,0,1] op_sel_hi:[1,0,0] neg_lo:[0,0,1] neg_hi:[0,0,1]
	v_mov_b32_e32 v66, v62
	v_mov_b32_e32 v67, v65
	v_pk_add_f32 v[70:71], v[56:57], v[66:67]
	v_pk_fma_f32 v[66:67], v[92:93], s[12:13], v[68:69] op_sel:[0,0,1] op_sel_hi:[1,0,0]
	v_pk_fma_f32 v[68:69], v[92:93], s[12:13], v[68:69] op_sel:[0,0,1] op_sel_hi:[1,0,0] neg_lo:[0,0,1] neg_hi:[0,0,1]
	v_mov_b32_e32 v72, v66
	v_mov_b32_e32 v73, v69
	v_pk_add_f32 v[74:75], v[72:73], v[70:71]
	v_pk_mul_f32 v[72:73], v[98:99], s[24:25] op_sel_hi:[1,0]
	v_pk_fma_f32 v[116:117], v[154:155], s[0:1], v[114:115] op_sel:[0,0,1] op_sel_hi:[1,0,0] neg_lo:[0,0,1] neg_hi:[0,0,1]
	v_pk_fma_f32 v[70:71], v[96:97], s[22:23], v[72:73] op_sel:[0,0,1] op_sel_hi:[1,0,0]
	v_pk_fma_f32 v[72:73], v[96:97], s[22:23], v[72:73] op_sel:[0,0,1] op_sel_hi:[1,0,0] neg_lo:[0,0,1] neg_hi:[0,0,1]
	v_mov_b32_e32 v76, v70
	v_mov_b32_e32 v77, v73
	v_pk_add_f32 v[78:79], v[76:77], v[74:75]
	v_pk_mul_f32 v[76:77], v[104:105], s[34:35] op_sel_hi:[1,0]
	v_pk_mul_f32 v[160:161], v[94:95], s[24:25] op_sel_hi:[1,0]
	v_pk_fma_f32 v[74:75], v[102:103], s[16:17], v[76:77] op_sel:[0,0,1] op_sel_hi:[1,0,0]
	v_pk_fma_f32 v[76:77], v[102:103], s[16:17], v[76:77] op_sel:[0,0,1] op_sel_hi:[1,0,0] neg_lo:[0,0,1] neg_hi:[0,0,1]
	v_mov_b32_e32 v80, v74
	v_mov_b32_e32 v81, v77
	v_pk_add_f32 v[82:83], v[80:81], v[78:79]
	v_pk_mul_f32 v[80:81], v[108:109], s[26:27] op_sel_hi:[1,0]
	v_pk_fma_f32 v[162:163], v[92:93], s[22:23], v[160:161] op_sel:[0,0,1] op_sel_hi:[1,0,0]
	v_pk_fma_f32 v[78:79], v[106:107], s[10:11], v[80:81] op_sel:[0,0,1] op_sel_hi:[1,0,0]
	v_pk_fma_f32 v[80:81], v[106:107], s[10:11], v[80:81] op_sel:[0,0,1] op_sel_hi:[1,0,0] neg_lo:[0,0,1] neg_hi:[0,0,1]
	v_mov_b32_e32 v112, v78
	v_mov_b32_e32 v113, v81
	v_pk_add_f32 v[112:113], v[112:113], v[82:83]
	v_pk_fma_f32 v[82:83], v[154:155], s[0:1], v[114:115] op_sel:[0,0,1] op_sel_hi:[1,0,0]
	v_mov_b32_e32 v115, v117
	v_mov_b32_e32 v114, v82
	v_pk_add_f32 v[112:113], v[114:115], v[112:113]
	v_pk_mul_f32 v[114:115], v[90:91], s[28:29] op_sel_hi:[1,0]
	v_pk_fma_f32 v[160:161], v[92:93], s[22:23], v[160:161] op_sel:[0,0,1] op_sel_hi:[1,0,0] neg_lo:[0,0,1] neg_hi:[0,0,1]
	v_pk_fma_f32 v[156:157], v[88:89], s[10:11], v[114:115] op_sel:[0,0,1] op_sel_hi:[1,0,0]
	v_pk_fma_f32 v[114:115], v[88:89], s[10:11], v[114:115] op_sel:[0,0,1] op_sel_hi:[1,0,0] neg_lo:[0,0,1] neg_hi:[0,0,1]
	v_mov_b32_e32 v158, v156
	v_mov_b32_e32 v159, v115
	v_pk_add_f32 v[158:159], v[56:57], v[158:159]
	v_mov_b32_e32 v164, v162
	v_mov_b32_e32 v165, v161
	v_pk_add_f32 v[158:159], v[164:165], v[158:159]
	v_pk_mul_f32 v[164:165], v[98:99], s[42:43] op_sel_hi:[1,0]
	v_pk_mul_f32 v[182:183], v[94:95], s[34:35] op_sel_hi:[1,0]
	v_pk_fma_f32 v[166:167], v[96:97], s[12:13], v[164:165] op_sel:[0,0,1] op_sel_hi:[1,0,0]
	v_pk_fma_f32 v[164:165], v[96:97], s[12:13], v[164:165] op_sel:[0,0,1] op_sel_hi:[1,0,0] neg_lo:[0,0,1] neg_hi:[0,0,1]
	v_mov_b32_e32 v168, v166
	v_mov_b32_e32 v169, v165
	v_pk_add_f32 v[158:159], v[168:169], v[158:159]
	v_pk_mul_f32 v[168:169], v[104:105], s[30:31] op_sel_hi:[1,0]
	v_pk_fma_f32 v[184:185], v[92:93], s[16:17], v[182:183] op_sel:[0,0,1] op_sel_hi:[1,0,0]
	v_pk_fma_f32 v[170:171], v[102:103], s[0:1], v[168:169] op_sel:[0,0,1] op_sel_hi:[1,0,0]
	v_pk_fma_f32 v[168:169], v[102:103], s[0:1], v[168:169] op_sel:[0,0,1] op_sel_hi:[1,0,0] neg_lo:[0,0,1] neg_hi:[0,0,1]
	v_mov_b32_e32 v172, v170
	v_mov_b32_e32 v173, v169
	v_pk_add_f32 v[158:159], v[172:173], v[158:159]
	v_pk_mul_f32 v[172:173], v[108:109], s[20:21] op_sel_hi:[1,0]
	v_pk_fma_f32 v[182:183], v[92:93], s[16:17], v[182:183] op_sel:[0,0,1] op_sel_hi:[1,0,0] neg_lo:[0,0,1] neg_hi:[0,0,1]
	v_pk_fma_f32 v[174:175], v[106:107], s[8:9], v[172:173] op_sel:[0,0,1] op_sel_hi:[1,0,0]
	v_pk_fma_f32 v[172:173], v[106:107], s[8:9], v[172:173] op_sel:[0,0,1] op_sel_hi:[1,0,0] neg_lo:[0,0,1] neg_hi:[0,0,1]
	v_mov_b32_e32 v176, v174
	v_mov_b32_e32 v177, v173
	v_pk_add_f32 v[158:159], v[176:177], v[158:159]
	v_pk_mul_f32 v[176:177], v[110:111], s[18:19] op_sel_hi:[1,0]
	v_mov_b32_e32 v186, v184
	v_pk_fma_f32 v[178:179], v[154:155], s[16:17], v[176:177] op_sel:[0,0,1] op_sel_hi:[1,0,0]
	v_pk_fma_f32 v[176:177], v[154:155], s[16:17], v[176:177] op_sel:[0,0,1] op_sel_hi:[1,0,0] neg_lo:[0,0,1] neg_hi:[0,0,1]
	v_mov_b32_e32 v180, v178
	v_mov_b32_e32 v181, v177
	v_pk_add_f32 v[158:159], v[180:181], v[158:159]
	ds_write2_b64 v193, v[112:113], v[158:159] offset0:2 offset1:3
	v_pk_mul_f32 v[112:113], v[90:91], s[14:15] op_sel_hi:[1,0]
	v_mov_b32_e32 v187, v183
	v_pk_fma_f32 v[158:159], v[88:89], s[12:13], v[112:113] op_sel:[0,0,1] op_sel_hi:[1,0,0]
	v_pk_fma_f32 v[112:113], v[88:89], s[12:13], v[112:113] op_sel:[0,0,1] op_sel_hi:[1,0,0] neg_lo:[0,0,1] neg_hi:[0,0,1]
	v_mov_b32_e32 v180, v158
	v_mov_b32_e32 v181, v113
	v_pk_add_f32 v[180:181], v[56:57], v[180:181]
	v_pk_mul_f32 v[210:211], v[94:95], s[26:27] op_sel_hi:[1,0]
	v_pk_add_f32 v[180:181], v[186:187], v[180:181]
	v_pk_mul_f32 v[186:187], v[98:99], s[30:31] op_sel_hi:[1,0]
	v_pk_fma_f32 v[212:213], v[92:93], s[10:11], v[210:211] op_sel:[0,0,1] op_sel_hi:[1,0,0]
	v_pk_fma_f32 v[188:189], v[96:97], s[0:1], v[186:187] op_sel:[0,0,1] op_sel_hi:[1,0,0]
	v_pk_fma_f32 v[186:187], v[96:97], s[0:1], v[186:187] op_sel:[0,0,1] op_sel_hi:[1,0,0] neg_lo:[0,0,1] neg_hi:[0,0,1]
	v_mov_b32_e32 v190, v188
	v_mov_b32_e32 v191, v187
	v_pk_add_f32 v[180:181], v[190:191], v[180:181]
	v_pk_mul_f32 v[190:191], v[104:105], s[28:29] op_sel_hi:[1,0]
	v_pk_fma_f32 v[210:211], v[92:93], s[10:11], v[210:211] op_sel:[0,0,1] op_sel_hi:[1,0,0] neg_lo:[0,0,1] neg_hi:[0,0,1]
	v_pk_fma_f32 v[194:195], v[102:103], s[10:11], v[190:191] op_sel:[0,0,1] op_sel_hi:[1,0,0]
	v_pk_fma_f32 v[190:191], v[102:103], s[10:11], v[190:191] op_sel:[0,0,1] op_sel_hi:[1,0,0] neg_lo:[0,0,1] neg_hi:[0,0,1]
	v_mov_b32_e32 v196, v194
	v_mov_b32_e32 v197, v191
	v_pk_add_f32 v[180:181], v[196:197], v[180:181]
	v_pk_mul_f32 v[196:197], v[108:109], s[38:39] op_sel_hi:[1,0]
	v_mov_b32_e32 v214, v212
	v_pk_fma_f32 v[198:199], v[106:107], s[22:23], v[196:197] op_sel:[0,0,1] op_sel_hi:[1,0,0]
	v_pk_fma_f32 v[196:197], v[106:107], s[22:23], v[196:197] op_sel:[0,0,1] op_sel_hi:[1,0,0] neg_lo:[0,0,1] neg_hi:[0,0,1]
	v_mov_b32_e32 v200, v198
	v_mov_b32_e32 v201, v197
	v_pk_add_f32 v[180:181], v[200:201], v[180:181]
	v_pk_mul_f32 v[200:201], v[110:111], s[36:37] op_sel_hi:[1,0]
	v_mov_b32_e32 v215, v211
	v_pk_fma_f32 v[202:203], v[154:155], s[8:9], v[200:201] op_sel:[0,0,1] op_sel_hi:[1,0,0]
	v_pk_fma_f32 v[200:201], v[154:155], s[8:9], v[200:201] op_sel:[0,0,1] op_sel_hi:[1,0,0] neg_lo:[0,0,1] neg_hi:[0,0,1]
	v_mov_b32_e32 v204, v202
	v_mov_b32_e32 v205, v201
	v_pk_add_f32 v[180:181], v[204:205], v[180:181]
	v_pk_mul_f32 v[204:205], v[90:91], s[18:19] op_sel_hi:[1,0]
	v_pk_mul_f32 v[90:91], v[90:91], s[24:25] op_sel_hi:[1,0]
	v_pk_fma_f32 v[206:207], v[88:89], s[16:17], v[204:205] op_sel:[0,0,1] op_sel_hi:[1,0,0]
	v_pk_fma_f32 v[204:205], v[88:89], s[16:17], v[204:205] op_sel:[0,0,1] op_sel_hi:[1,0,0] neg_lo:[0,0,1] neg_hi:[0,0,1]
	v_mov_b32_e32 v208, v206
	v_mov_b32_e32 v209, v205
	v_pk_add_f32 v[208:209], v[56:57], v[208:209]
	v_pk_mul_f32 v[94:95], v[94:95], s[30:31] op_sel_hi:[1,0]
	v_pk_add_f32 v[208:209], v[214:215], v[208:209]
	v_pk_mul_f32 v[214:215], v[98:99], s[20:21] op_sel_hi:[1,0]
	v_mov_b32_e32 v205, v207
	v_pk_fma_f32 v[216:217], v[96:97], s[8:9], v[214:215] op_sel:[0,0,1] op_sel_hi:[1,0,0]
	v_pk_fma_f32 v[214:215], v[96:97], s[8:9], v[214:215] op_sel:[0,0,1] op_sel_hi:[1,0,0] neg_lo:[0,0,1] neg_hi:[0,0,1]
	v_mov_b32_e32 v218, v216
	v_mov_b32_e32 v219, v215
	v_pk_add_f32 v[208:209], v[218:219], v[208:209]
	v_pk_mul_f32 v[218:219], v[104:105], s[38:39] op_sel_hi:[1,0]
	v_mov_b32_e32 v113, v159
	v_pk_fma_f32 v[220:221], v[102:103], s[22:23], v[218:219] op_sel:[0,0,1] op_sel_hi:[1,0,0]
	v_pk_fma_f32 v[218:219], v[102:103], s[22:23], v[218:219] op_sel:[0,0,1] op_sel_hi:[1,0,0] neg_lo:[0,0,1] neg_hi:[0,0,1]
	v_mov_b32_e32 v222, v220
	v_mov_b32_e32 v223, v219
	;; [unrolled: 7-line block ×4, first 2 shown]
	v_pk_add_f32 v[208:209], v[230:231], v[208:209]
	ds_write2_b64 v193, v[180:181], v[208:209] offset0:4 offset1:5
	v_pk_fma_f32 v[180:181], v[88:89], s[22:23], v[90:91] op_sel:[0,0,1] op_sel_hi:[1,0,0]
	v_pk_fma_f32 v[88:89], v[88:89], s[22:23], v[90:91] op_sel:[0,0,1] op_sel_hi:[1,0,0] neg_lo:[0,0,1] neg_hi:[0,0,1]
	v_mov_b32_e32 v90, v180
	v_mov_b32_e32 v91, v89
	v_pk_fma_f32 v[208:209], v[92:93], s[0:1], v[94:95] op_sel:[0,0,1] op_sel_hi:[1,0,0]
	v_pk_fma_f32 v[92:93], v[92:93], s[0:1], v[94:95] op_sel:[0,0,1] op_sel_hi:[1,0,0] neg_lo:[0,0,1] neg_hi:[0,0,1]
	v_pk_add_f32 v[90:91], v[56:57], v[90:91]
	v_mov_b32_e32 v94, v208
	v_mov_b32_e32 v95, v93
	v_pk_add_f32 v[90:91], v[94:95], v[90:91]
	v_pk_mul_f32 v[94:95], v[98:99], s[18:19] op_sel_hi:[1,0]
	v_mov_b32_e32 v89, v181
	v_pk_fma_f32 v[98:99], v[96:97], s[16:17], v[94:95] op_sel:[0,0,1] op_sel_hi:[1,0,0]
	v_pk_fma_f32 v[94:95], v[96:97], s[16:17], v[94:95] op_sel:[0,0,1] op_sel_hi:[1,0,0] neg_lo:[0,0,1] neg_hi:[0,0,1]
	v_mov_b32_e32 v96, v98
	v_mov_b32_e32 v97, v95
	v_pk_add_f32 v[90:91], v[96:97], v[90:91]
	v_pk_mul_f32 v[96:97], v[104:105], s[36:37] op_sel_hi:[1,0]
	v_pk_add_f32 v[88:89], v[56:57], v[88:89]
	v_pk_fma_f32 v[104:105], v[102:103], s[8:9], v[96:97] op_sel:[0,0,1] op_sel_hi:[1,0,0]
	v_pk_fma_f32 v[96:97], v[102:103], s[8:9], v[96:97] op_sel:[0,0,1] op_sel_hi:[1,0,0] neg_lo:[0,0,1] neg_hi:[0,0,1]
	v_mov_b32_e32 v102, v104
	v_mov_b32_e32 v103, v97
	v_pk_add_f32 v[90:91], v[102:103], v[90:91]
	v_pk_mul_f32 v[102:103], v[108:109], s[14:15] op_sel_hi:[1,0]
	v_mov_b32_e32 v93, v209
	v_pk_fma_f32 v[108:109], v[106:107], s[12:13], v[102:103] op_sel:[0,0,1] op_sel_hi:[1,0,0]
	v_pk_fma_f32 v[102:103], v[106:107], s[12:13], v[102:103] op_sel:[0,0,1] op_sel_hi:[1,0,0] neg_lo:[0,0,1] neg_hi:[0,0,1]
	v_mov_b32_e32 v106, v108
	v_mov_b32_e32 v107, v103
	v_pk_add_f32 v[88:89], v[92:93], v[88:89]
	v_mov_b32_e32 v95, v99
	v_pk_add_f32 v[90:91], v[106:107], v[90:91]
	v_pk_mul_f32 v[106:107], v[110:111], s[26:27] op_sel_hi:[1,0]
	v_pk_add_f32 v[88:89], v[94:95], v[88:89]
	v_mov_b32_e32 v97, v105
	v_pk_fma_f32 v[110:111], v[154:155], s[10:11], v[106:107] op_sel:[0,0,1] op_sel_hi:[1,0,0]
	v_pk_fma_f32 v[106:107], v[154:155], s[10:11], v[106:107] op_sel:[0,0,1] op_sel_hi:[1,0,0] neg_lo:[0,0,1] neg_hi:[0,0,1]
	v_pk_add_f32 v[88:89], v[96:97], v[88:89]
	v_mov_b32_e32 v103, v109
	v_mov_b32_e32 v154, v110
	;; [unrolled: 1-line block ×3, first 2 shown]
	v_pk_add_f32 v[88:89], v[102:103], v[88:89]
	v_mov_b32_e32 v107, v111
	v_pk_add_f32 v[90:91], v[154:155], v[90:91]
	v_pk_add_f32 v[88:89], v[106:107], v[88:89]
	ds_write2_b64 v193, v[90:91], v[88:89] offset0:6 offset1:7
	v_pk_add_f32 v[88:89], v[56:57], v[204:205]
	v_pk_add_f32 v[90:91], v[56:57], v[112:113]
	;; [unrolled: 1-line block ×3, first 2 shown]
	v_mov_b32_e32 v215, v217
	v_pk_add_f32 v[90:91], v[182:183], v[90:91]
	v_mov_b32_e32 v187, v189
	v_pk_add_f32 v[88:89], v[214:215], v[88:89]
	;; [unrolled: 2-line block ×8, first 2 shown]
	v_pk_add_f32 v[90:91], v[200:201], v[90:91]
	v_mov_b32_e32 v115, v157
	v_mov_b32_e32 v65, v63
	;; [unrolled: 1-line block ×3, first 2 shown]
	ds_write2_b64 v193, v[88:89], v[90:91] offset0:8 offset1:9
	v_pk_add_f32 v[88:89], v[56:57], v[114:115]
	v_mov_b32_e32 v161, v163
	v_pk_add_f32 v[62:63], v[56:57], v[64:65]
	v_mov_b32_e32 v69, v67
	;; [unrolled: 2-line block ×15, first 2 shown]
	v_pk_add_f32 v[88:89], v[176:177], v[88:89]
	v_pk_add_f32 v[62:63], v[116:117], v[62:63]
	;; [unrolled: 1-line block ×3, first 2 shown]
	ds_write2_b64 v193, v[88:89], v[62:63] offset0:10 offset1:11
	ds_write_b64 v193, v[0:1] offset:96
.LBB0_13:
	s_or_b64 exec, exec, s[44:45]
	s_waitcnt lgkmcnt(0)
	; wave barrier
	s_waitcnt lgkmcnt(0)
	ds_read2_b64 v[2:5], v101 offset0:26 offset1:39
	ds_read2_b64 v[6:9], v101 offset1:13
	ds_read2_b64 v[10:13], v101 offset0:78 offset1:91
	ds_read2_b64 v[14:17], v101 offset0:104 offset1:117
	;; [unrolled: 1-line block ×3, first 2 shown]
	s_waitcnt lgkmcnt(4)
	v_pk_mul_f32 v[18:19], v[24:25], v[4:5]
	s_mov_b32 s0, 0x3f737871
	v_pk_fma_f32 v[60:61], v[144:145], v[4:5], v[18:19] op_sel:[0,0,1] op_sel_hi:[1,1,0]
	v_pk_fma_f32 v[4:5], v[144:145], v[4:5], v[18:19] op_sel:[0,0,1] op_sel_hi:[1,1,0] neg_lo:[0,0,1] neg_hi:[0,0,1]
	v_mov_b32_e32 v0, s2
	v_mov_b32_e32 v61, v5
	s_waitcnt lgkmcnt(2)
	v_pk_mul_f32 v[4:5], v[26:27], v[10:11]
	s_mov_b32 s2, 0x3f167918
	v_pk_fma_f32 v[18:19], v[142:143], v[10:11], v[4:5] op_sel:[0,0,1] op_sel_hi:[1,1,0]
	v_pk_fma_f32 v[4:5], v[142:143], v[10:11], v[4:5] op_sel:[0,0,1] op_sel_hi:[1,1,0] neg_lo:[0,0,1] neg_hi:[0,0,1]
	s_mov_b32 s8, 0x3e9e377a
	v_mov_b32_e32 v19, v5
	s_waitcnt lgkmcnt(1)
	v_pk_mul_f32 v[4:5], v[20:21], v[16:17]
	v_pk_add_f32 v[70:71], v[60:61], v[18:19] neg_lo:[0,1] neg_hi:[0,1]
	v_pk_fma_f32 v[10:11], v[140:141], v[16:17], v[4:5] op_sel:[0,0,1] op_sel_hi:[1,1,0]
	v_pk_fma_f32 v[4:5], v[140:141], v[16:17], v[4:5] op_sel:[0,0,1] op_sel_hi:[1,1,0] neg_lo:[0,0,1] neg_hi:[0,0,1]
	v_mov_b32_e32 v1, s3
	v_mov_b32_e32 v11, v5
	s_waitcnt lgkmcnt(0)
	v_pk_mul_f32 v[4:5], v[22:23], v[56:57]
	v_pk_add_f32 v[66:67], v[18:19], v[10:11] neg_lo:[0,1] neg_hi:[0,1]
	v_pk_fma_f32 v[16:17], v[138:139], v[56:57], v[4:5] op_sel:[0,0,1] op_sel_hi:[1,1,0]
	v_pk_fma_f32 v[4:5], v[138:139], v[56:57], v[4:5] op_sel:[0,0,1] op_sel_hi:[1,1,0] neg_lo:[0,0,1] neg_hi:[0,0,1]
	v_pk_mul_f32 v[68:69], v[66:67], s[2:3] op_sel_hi:[1,0]
	v_mov_b32_e32 v17, v5
	v_pk_add_f32 v[4:5], v[6:7], v[60:61]
	v_pk_add_f32 v[62:63], v[60:61], v[16:17] neg_lo:[0,1] neg_hi:[0,1]
	v_pk_add_f32 v[4:5], v[4:5], v[18:19]
	v_pk_mul_f32 v[64:65], v[62:63], s[0:1] op_sel_hi:[1,0]
	v_pk_add_f32 v[4:5], v[4:5], v[10:11]
	v_pk_add_f32 v[72:73], v[16:17], v[10:11] neg_lo:[0,1] neg_hi:[0,1]
	v_pk_add_f32 v[56:57], v[4:5], v[16:17]
	v_pk_add_f32 v[4:5], v[18:19], v[10:11]
	;; [unrolled: 1-line block ×3, first 2 shown]
	v_pk_fma_f32 v[4:5], v[4:5], 0.5, v[6:7] op_sel_hi:[1,0,1] neg_lo:[1,0,0] neg_hi:[1,0,0]
	v_pk_add_f32 v[10:11], v[10:11], v[16:17] neg_lo:[0,1] neg_hi:[0,1]
	v_pk_add_f32 v[72:73], v[4:5], v[64:65] op_sel:[0,1] op_sel_hi:[1,0] neg_lo:[0,1] neg_hi:[0,1]
	v_pk_add_f32 v[4:5], v[4:5], v[64:65] op_sel:[0,1] op_sel_hi:[1,0]
	s_nop 0
	v_pk_add_f32 v[64:65], v[4:5], v[68:69] op_sel:[0,1] op_sel_hi:[1,0]
	v_pk_add_f32 v[68:69], v[72:73], v[68:69] op_sel:[0,1] op_sel_hi:[1,0] neg_lo:[0,1] neg_hi:[0,1]
	v_mov_b32_e32 v5, v65
	v_mov_b32_e32 v4, v68
	v_pk_fma_f32 v[72:73], v[70:71], s[8:9], v[4:5] op_sel_hi:[1,0,1]
	v_pk_add_f32 v[4:5], v[60:61], v[16:17]
	v_pk_mul_f32 v[16:17], v[62:63], s[2:3] op_sel_hi:[1,0]
	v_pk_fma_f32 v[4:5], v[4:5], 0.5, v[6:7] op_sel_hi:[1,0,1] neg_lo:[1,0,0] neg_hi:[1,0,0]
	v_pk_add_f32 v[6:7], v[18:19], v[60:61] neg_lo:[0,1] neg_hi:[0,1]
	v_mov_b32_e32 v65, v69
	v_pk_add_f32 v[6:7], v[6:7], v[10:11]
	v_pk_mul_f32 v[10:11], v[66:67], s[0:1] op_sel_hi:[1,0]
	v_pk_fma_f32 v[62:63], v[70:71], s[8:9], v[64:65] op_sel_hi:[1,0,1]
	v_pk_add_f32 v[18:19], v[4:5], v[10:11] op_sel:[0,1] op_sel_hi:[1,0]
	v_pk_add_f32 v[4:5], v[4:5], v[10:11] op_sel:[0,1] op_sel_hi:[1,0] neg_lo:[0,1] neg_hi:[0,1]
	v_pk_add_f32 v[10:11], v[18:19], v[16:17] op_sel:[0,1] op_sel_hi:[1,0] neg_lo:[0,1] neg_hi:[0,1]
	v_pk_add_f32 v[4:5], v[4:5], v[16:17] op_sel:[0,1] op_sel_hi:[1,0]
	v_mov_b32_e32 v16, v10
	v_mov_b32_e32 v17, v5
	;; [unrolled: 1-line block ×3, first 2 shown]
	v_pk_fma_f32 v[60:61], v[6:7], s[8:9], v[16:17] op_sel_hi:[1,0,1]
	v_pk_fma_f32 v[10:11], v[6:7], s[8:9], v[4:5] op_sel_hi:[1,0,1]
	ds_read2_b64 v[4:7], v101 offset0:52 offset1:65
	ds_read2_b64 v[16:19], v101 offset0:130 offset1:143
	ds_read_b64 v[64:65], v101 offset:1456
	s_waitcnt lgkmcnt(0)
	; wave barrier
	s_waitcnt lgkmcnt(0)
	ds_write2_b64 v101, v[56:57], v[72:73] offset1:13
	ds_write2_b64 v101, v[60:61], v[10:11] offset0:26 offset1:39
	v_pk_mul_f32 v[24:25], v[24:25], v[4:5]
	v_pk_mul_f32 v[32:33], v[32:33], v[6:7]
	v_pk_fma_f32 v[70:71], v[144:145], v[4:5], v[24:25] op_sel:[0,0,1] op_sel_hi:[1,1,0]
	v_pk_fma_f32 v[4:5], v[144:145], v[4:5], v[24:25] op_sel:[0,0,1] op_sel_hi:[1,1,0] neg_lo:[0,0,1] neg_hi:[0,0,1]
	v_pk_fma_f32 v[66:67], v[152:153], v[6:7], v[32:33] op_sel:[0,0,1] op_sel_hi:[1,1,0]
	v_mov_b32_e32 v71, v5
	v_pk_mul_f32 v[4:5], v[26:27], v[12:13]
	v_pk_add_f32 v[10:11], v[8:9], v[70:71]
	v_pk_fma_f32 v[24:25], v[142:143], v[12:13], v[4:5] op_sel:[0,0,1] op_sel_hi:[1,1,0]
	v_pk_fma_f32 v[4:5], v[142:143], v[12:13], v[4:5] op_sel:[0,0,1] op_sel_hi:[1,1,0] neg_lo:[0,0,1] neg_hi:[0,0,1]
	v_pk_fma_f32 v[6:7], v[152:153], v[6:7], v[32:33] op_sel:[0,0,1] op_sel_hi:[1,1,0] neg_lo:[0,0,1] neg_hi:[0,0,1]
	v_mov_b32_e32 v25, v5
	v_pk_mul_f32 v[4:5], v[20:21], v[16:17]
	v_pk_add_f32 v[10:11], v[10:11], v[24:25]
	v_pk_fma_f32 v[12:13], v[140:141], v[16:17], v[4:5] op_sel:[0,0,1] op_sel_hi:[1,1,0]
	v_pk_fma_f32 v[4:5], v[140:141], v[16:17], v[4:5] op_sel:[0,0,1] op_sel_hi:[1,1,0] neg_lo:[0,0,1] neg_hi:[0,0,1]
	v_mov_b32_e32 v67, v7
	v_mov_b32_e32 v13, v5
	v_pk_mul_f32 v[4:5], v[22:23], v[58:59]
	v_pk_mul_f32 v[6:7], v[34:35], v[14:15]
	v_pk_fma_f32 v[16:17], v[138:139], v[58:59], v[4:5] op_sel:[0,0,1] op_sel_hi:[1,1,0]
	v_pk_fma_f32 v[4:5], v[138:139], v[58:59], v[4:5] op_sel:[0,0,1] op_sel_hi:[1,1,0] neg_lo:[0,0,1] neg_hi:[0,0,1]
	v_pk_add_f32 v[10:11], v[10:11], v[12:13]
	v_mov_b32_e32 v17, v5
	v_pk_fma_f32 v[32:33], v[150:151], v[14:15], v[6:7] op_sel:[0,0,1] op_sel_hi:[1,1,0]
	v_pk_fma_f32 v[6:7], v[150:151], v[14:15], v[6:7] op_sel:[0,0,1] op_sel_hi:[1,1,0] neg_lo:[0,0,1] neg_hi:[0,0,1]
	v_pk_add_f32 v[10:11], v[10:11], v[16:17]
	v_mov_b32_e32 v33, v7
	v_pk_mul_f32 v[6:7], v[28:29], v[18:19]
	v_pk_add_f32 v[4:5], v[24:25], v[12:13]
	ds_write2_b64 v101, v[62:63], v[10:11] offset0:52 offset1:65
	v_pk_add_f32 v[10:11], v[70:71], v[16:17]
	v_pk_fma_f32 v[14:15], v[148:149], v[18:19], v[6:7] op_sel:[0,0,1] op_sel_hi:[1,1,0]
	v_pk_fma_f32 v[6:7], v[148:149], v[18:19], v[6:7] op_sel:[0,0,1] op_sel_hi:[1,1,0] neg_lo:[0,0,1] neg_hi:[0,0,1]
	v_pk_fma_f32 v[4:5], v[4:5], 0.5, v[8:9] op_sel_hi:[1,0,1] neg_lo:[1,0,0] neg_hi:[1,0,0]
	v_pk_add_f32 v[20:21], v[70:71], v[16:17] neg_lo:[0,1] neg_hi:[0,1]
	v_pk_add_f32 v[22:23], v[24:25], v[12:13] neg_lo:[0,1] neg_hi:[0,1]
	;; [unrolled: 1-line block ×4, first 2 shown]
	v_pk_fma_f32 v[8:9], v[10:11], 0.5, v[8:9] op_sel_hi:[1,0,1] neg_lo:[1,0,0] neg_hi:[1,0,0]
	v_pk_add_f32 v[10:11], v[24:25], v[70:71] neg_lo:[0,1] neg_hi:[0,1]
	v_pk_add_f32 v[12:13], v[12:13], v[16:17] neg_lo:[0,1] neg_hi:[0,1]
	v_mov_b32_e32 v15, v7
	v_pk_mul_f32 v[6:7], v[30:31], v[64:65]
	v_pk_add_f32 v[26:27], v[26:27], v[58:59]
	v_pk_fma_f32 v[58:59], v[20:21], s[0:1], v[4:5] op_sel:[1,0,0] op_sel_hi:[0,0,1]
	v_pk_fma_f32 v[4:5], v[20:21], s[0:1], v[4:5] op_sel:[1,0,0] op_sel_hi:[0,0,1] neg_lo:[1,0,0] neg_hi:[1,0,0]
	v_pk_add_f32 v[10:11], v[10:11], v[12:13]
	v_pk_fma_f32 v[12:13], v[22:23], s[0:1], v[8:9] op_sel:[1,0,0] op_sel_hi:[0,0,1] neg_lo:[1,0,0] neg_hi:[1,0,0]
	v_pk_fma_f32 v[8:9], v[22:23], s[0:1], v[8:9] op_sel:[1,0,0] op_sel_hi:[0,0,1]
	v_pk_fma_f32 v[18:19], v[146:147], v[64:65], v[6:7] op_sel:[0,0,1] op_sel_hi:[1,1,0]
	v_pk_fma_f32 v[6:7], v[146:147], v[64:65], v[6:7] op_sel:[0,0,1] op_sel_hi:[1,1,0] neg_lo:[0,0,1] neg_hi:[0,0,1]
	v_pk_fma_f32 v[4:5], v[22:23], s[2:3], v[4:5] op_sel:[1,0,0] op_sel_hi:[0,0,1] neg_lo:[1,0,0] neg_hi:[1,0,0]
	v_pk_fma_f32 v[58:59], v[22:23], s[2:3], v[58:59] op_sel:[1,0,0] op_sel_hi:[0,0,1]
	v_pk_fma_f32 v[8:9], v[20:21], s[2:3], v[8:9] op_sel:[1,0,0] op_sel_hi:[0,0,1] neg_lo:[1,0,0] neg_hi:[1,0,0]
	v_pk_fma_f32 v[12:13], v[20:21], s[2:3], v[12:13] op_sel:[1,0,0] op_sel_hi:[0,0,1]
	v_mov_b32_e32 v19, v7
	v_pk_add_f32 v[6:7], v[32:33], v[14:15]
	v_mov_b32_e32 v75, v5
	v_mov_b32_e32 v5, v59
	;; [unrolled: 1-line block ×4, first 2 shown]
	v_pk_fma_f32 v[6:7], v[6:7], 0.5, v[2:3] op_sel_hi:[1,0,1] neg_lo:[1,0,0] neg_hi:[1,0,0]
	v_pk_add_f32 v[28:29], v[66:67], v[18:19] neg_lo:[0,1] neg_hi:[0,1]
	v_pk_add_f32 v[34:35], v[66:67], v[32:33] neg_lo:[0,1] neg_hi:[0,1]
	;; [unrolled: 1-line block ×3, first 2 shown]
	v_mov_b32_e32 v74, v58
	v_pk_fma_f32 v[4:5], v[26:27], s[8:9], v[4:5] op_sel_hi:[1,0,1]
	v_mov_b32_e32 v16, v12
	v_pk_fma_f32 v[8:9], v[10:11], s[8:9], v[8:9] op_sel_hi:[1,0,1]
	v_pk_add_f32 v[30:31], v[32:33], v[14:15] neg_lo:[0,1] neg_hi:[0,1]
	v_pk_add_f32 v[34:35], v[34:35], v[64:65]
	v_pk_fma_f32 v[64:65], v[28:29], s[0:1], v[6:7] op_sel:[1,0,0] op_sel_hi:[0,0,1]
	v_pk_fma_f32 v[6:7], v[28:29], s[0:1], v[6:7] op_sel:[1,0,0] op_sel_hi:[0,0,1] neg_lo:[1,0,0] neg_hi:[1,0,0]
	v_pk_fma_f32 v[74:75], v[26:27], s[8:9], v[74:75] op_sel_hi:[1,0,1]
	v_pk_fma_f32 v[16:17], v[10:11], s[8:9], v[16:17] op_sel_hi:[1,0,1]
	ds_write2_b64 v101, v[4:5], v[8:9] offset0:78 offset1:91
	ds_write2_b64 v101, v[16:17], v[74:75] offset0:104 offset1:117
	v_pk_add_f32 v[4:5], v[2:3], v[66:67]
	v_pk_fma_f32 v[6:7], v[30:31], s[2:3], v[6:7] op_sel:[1,0,0] op_sel_hi:[0,0,1] neg_lo:[1,0,0] neg_hi:[1,0,0]
	v_pk_fma_f32 v[64:65], v[30:31], s[2:3], v[64:65] op_sel:[1,0,0] op_sel_hi:[0,0,1]
	v_pk_add_f32 v[4:5], v[4:5], v[32:33]
	v_mov_b32_e32 v69, v7
	v_pk_add_f32 v[4:5], v[4:5], v[14:15]
	v_mov_b32_e32 v7, v65
	v_pk_add_f32 v[4:5], v[4:5], v[18:19]
	v_pk_fma_f32 v[6:7], v[34:35], s[8:9], v[6:7] op_sel_hi:[1,0,1]
	ds_write2_b64 v192, v[4:5], v[6:7] offset0:130 offset1:143
	v_pk_add_f32 v[4:5], v[66:67], v[18:19]
	v_pk_add_f32 v[6:7], v[14:15], v[18:19] neg_lo:[0,1] neg_hi:[0,1]
	v_pk_fma_f32 v[2:3], v[4:5], 0.5, v[2:3] op_sel_hi:[1,0,1] neg_lo:[1,0,0] neg_hi:[1,0,0]
	v_pk_add_f32 v[4:5], v[32:33], v[66:67] neg_lo:[0,1] neg_hi:[0,1]
	v_mov_b32_e32 v68, v64
	v_pk_add_f32 v[4:5], v[4:5], v[6:7]
	v_pk_fma_f32 v[6:7], v[30:31], s[0:1], v[2:3] op_sel:[1,0,0] op_sel_hi:[0,0,1] neg_lo:[1,0,0] neg_hi:[1,0,0]
	v_pk_fma_f32 v[2:3], v[30:31], s[0:1], v[2:3] op_sel:[1,0,0] op_sel_hi:[0,0,1]
	v_pk_fma_f32 v[2:3], v[28:29], s[2:3], v[2:3] op_sel:[1,0,0] op_sel_hi:[0,0,1] neg_lo:[1,0,0] neg_hi:[1,0,0]
	v_pk_fma_f32 v[6:7], v[28:29], s[2:3], v[6:7] op_sel:[1,0,0] op_sel_hi:[0,0,1]
	v_mov_b32_e32 v8, v6
	v_mov_b32_e32 v9, v3
	;; [unrolled: 1-line block ×3, first 2 shown]
	v_pk_fma_f32 v[8:9], v[4:5], s[8:9], v[8:9] op_sel_hi:[1,0,1]
	v_pk_fma_f32 v[2:3], v[4:5], s[8:9], v[2:3] op_sel_hi:[1,0,1]
	;; [unrolled: 1-line block ×3, first 2 shown]
	ds_write2_b64 v192, v[2:3], v[8:9] offset0:156 offset1:169
	ds_write_b64 v192, v[68:69] offset:1456
	s_waitcnt lgkmcnt(0)
	; wave barrier
	s_waitcnt lgkmcnt(0)
	ds_read2_b64 v[2:5], v101 offset0:52 offset1:65
	ds_read2_b64 v[6:9], v101 offset1:13
	ds_read2_b64 v[10:13], v101 offset0:130 offset1:143
	v_mad_u64_u32 v[22:23], s[0:1], s6, v100, 0
	s_mov_b32 s0, 0x3f5db3d7
	s_waitcnt lgkmcnt(2)
	v_pk_mul_f32 v[14:15], v[52:53], v[4:5]
	s_nop 0
	v_pk_fma_f32 v[24:25], v[136:137], v[4:5], v[14:15] op_sel:[0,0,1] op_sel_hi:[1,1,0]
	v_pk_fma_f32 v[4:5], v[136:137], v[4:5], v[14:15] op_sel:[0,0,1] op_sel_hi:[1,1,0] neg_lo:[0,0,1] neg_hi:[0,0,1]
	ds_read2_b64 v[14:17], v101 offset0:78 offset1:91
	v_mov_b32_e32 v25, v5
	s_waitcnt lgkmcnt(1)
	v_pk_mul_f32 v[4:5], v[54:55], v[10:11]
	s_nop 0
	v_pk_fma_f32 v[26:27], v[134:135], v[10:11], v[4:5] op_sel:[0,0,1] op_sel_hi:[1,1,0]
	v_pk_fma_f32 v[4:5], v[134:135], v[10:11], v[4:5] op_sel:[0,0,1] op_sel_hi:[1,1,0] neg_lo:[0,0,1] neg_hi:[0,0,1]
	s_waitcnt lgkmcnt(0)
	v_pk_mul_f32 v[10:11], v[48:49], v[14:15]
	v_mov_b32_e32 v27, v5
	v_pk_fma_f32 v[28:29], v[132:133], v[14:15], v[10:11] op_sel:[0,0,1] op_sel_hi:[1,1,0]
	v_pk_fma_f32 v[10:11], v[132:133], v[14:15], v[10:11] op_sel:[0,0,1] op_sel_hi:[1,1,0] neg_lo:[0,0,1] neg_hi:[0,0,1]
	v_pk_mul_f32 v[14:15], v[44:45], v[16:17]
	v_mov_b32_e32 v29, v11
	v_pk_mul_f32 v[10:11], v[50:51], v[12:13]
	v_pk_fma_f32 v[34:35], v[128:129], v[16:17], v[14:15] op_sel:[0,0,1] op_sel_hi:[1,1,0]
	v_pk_fma_f32 v[30:31], v[130:131], v[12:13], v[10:11] op_sel:[0,0,1] op_sel_hi:[1,1,0]
	v_pk_fma_f32 v[10:11], v[130:131], v[12:13], v[10:11] op_sel:[0,0,1] op_sel_hi:[1,1,0] neg_lo:[0,0,1] neg_hi:[0,0,1]
	v_pk_fma_f32 v[14:15], v[128:129], v[16:17], v[14:15] op_sel:[0,0,1] op_sel_hi:[1,1,0] neg_lo:[0,0,1] neg_hi:[0,0,1]
	v_mov_b32_e32 v31, v11
	v_pk_add_f32 v[10:11], v[8:9], v[28:29]
	v_mov_b32_e32 v35, v15
	v_pk_add_f32 v[32:33], v[10:11], v[30:31]
	ds_read2_b64 v[10:13], v101 offset0:26 offset1:39
	ds_read2_b64 v[18:21], v101 offset0:156 offset1:169
	;; [unrolled: 1-line block ×3, first 2 shown]
	v_pk_add_f32 v[4:5], v[6:7], v[24:25]
	s_waitcnt lgkmcnt(1)
	v_pk_mul_f32 v[44:45], v[46:47], v[18:19]
	s_waitcnt lgkmcnt(0)
	v_pk_mul_f32 v[40:41], v[40:41], v[14:15]
	v_pk_fma_f32 v[46:47], v[126:127], v[18:19], v[44:45] op_sel:[0,0,1] op_sel_hi:[1,1,0]
	v_pk_fma_f32 v[18:19], v[126:127], v[18:19], v[44:45] op_sel:[0,0,1] op_sel_hi:[1,1,0] neg_lo:[0,0,1] neg_hi:[0,0,1]
	v_pk_fma_f32 v[44:45], v[124:125], v[14:15], v[40:41] op_sel:[0,0,1] op_sel_hi:[1,1,0]
	v_pk_fma_f32 v[14:15], v[124:125], v[14:15], v[40:41] op_sel:[0,0,1] op_sel_hi:[1,1,0] neg_lo:[0,0,1] neg_hi:[0,0,1]
	v_pk_add_f32 v[4:5], v[4:5], v[26:27]
	v_mov_b32_e32 v45, v15
	v_pk_mul_f32 v[14:15], v[42:43], v[20:21]
	v_pk_mul_f32 v[36:37], v[36:37], v[16:17]
	v_pk_fma_f32 v[40:41], v[122:123], v[20:21], v[14:15] op_sel:[0,0,1] op_sel_hi:[1,1,0]
	v_pk_fma_f32 v[14:15], v[122:123], v[20:21], v[14:15] op_sel:[0,0,1] op_sel_hi:[1,1,0] neg_lo:[0,0,1] neg_hi:[0,0,1]
	ds_read_b64 v[20:21], v101 offset:1456
	ds_write_b64 v101, v[4:5]
	v_pk_add_f32 v[4:5], v[24:25], v[26:27]
	v_pk_fma_f32 v[42:43], v[120:121], v[16:17], v[36:37] op_sel:[0,0,1] op_sel_hi:[1,1,0]
	v_pk_fma_f32 v[16:17], v[120:121], v[16:17], v[36:37] op_sel:[0,0,1] op_sel_hi:[1,1,0] neg_lo:[0,0,1] neg_hi:[0,0,1]
	v_pk_fma_f32 v[4:5], v[4:5], 0.5, v[6:7] op_sel_hi:[1,0,1] neg_lo:[1,0,0] neg_hi:[1,0,0]
	v_pk_add_f32 v[6:7], v[24:25], v[26:27] neg_lo:[0,1] neg_hi:[0,1]
	v_mov_b32_e32 v43, v17
	s_waitcnt lgkmcnt(1)
	v_pk_mul_f32 v[16:17], v[38:39], v[20:21]
	v_pk_mul_f32 v[6:7], v[6:7], s[0:1] op_sel_hi:[1,0]
	v_pk_fma_f32 v[36:37], v[118:119], v[20:21], v[16:17] op_sel:[0,0,1] op_sel_hi:[1,1,0]
	v_pk_fma_f32 v[16:17], v[118:119], v[20:21], v[16:17] op_sel:[0,0,1] op_sel_hi:[1,1,0] neg_lo:[0,0,1] neg_hi:[0,0,1]
	v_pk_add_f32 v[20:21], v[4:5], v[6:7] op_sel:[0,1] op_sel_hi:[1,0] neg_lo:[0,1] neg_hi:[0,1]
	v_pk_add_f32 v[4:5], v[4:5], v[6:7] op_sel:[0,1] op_sel_hi:[1,0]
	v_mov_b32_e32 v6, v20
	v_mov_b32_e32 v7, v5
	;; [unrolled: 1-line block ×3, first 2 shown]
	v_pk_add_f32 v[20:21], v[28:29], v[30:31]
	v_mov_b32_e32 v47, v19
	v_pk_fma_f32 v[8:9], v[20:21], 0.5, v[8:9] op_sel_hi:[1,0,1] neg_lo:[1,0,0] neg_hi:[1,0,0]
	v_pk_add_f32 v[20:21], v[28:29], v[30:31] neg_lo:[0,1] neg_hi:[0,1]
	v_pk_add_f32 v[18:19], v[10:11], v[34:35]
	v_pk_mul_f32 v[20:21], v[20:21], s[0:1] op_sel_hi:[1,0]
	v_pk_add_f32 v[18:19], v[18:19], v[46:47]
	v_pk_add_f32 v[24:25], v[8:9], v[20:21] op_sel:[0,1] op_sel_hi:[1,0] neg_lo:[0,1] neg_hi:[0,1]
	v_pk_add_f32 v[8:9], v[8:9], v[20:21] op_sel:[0,1] op_sel_hi:[1,0]
	v_mov_b32_e32 v20, v24
	v_mov_b32_e32 v21, v9
	;; [unrolled: 1-line block ×3, first 2 shown]
	ds_write2_b64 v85, v[6:7], v[20:21] offset0:65 offset1:78
	ds_write2_b64 v85, v[4:5], v[8:9] offset0:130 offset1:143
	ds_write2_b64 v85, v[32:33], v[18:19] offset0:13 offset1:26
	v_pk_add_f32 v[4:5], v[34:35], v[46:47]
	v_pk_add_f32 v[6:7], v[34:35], v[46:47] neg_lo:[0,1] neg_hi:[0,1]
	v_pk_fma_f32 v[4:5], v[4:5], 0.5, v[10:11] op_sel_hi:[1,0,1] neg_lo:[1,0,0] neg_hi:[1,0,0]
	v_pk_mul_f32 v[6:7], v[6:7], s[0:1] op_sel_hi:[1,0]
	v_mov_b32_e32 v41, v15
	v_pk_add_f32 v[8:9], v[4:5], v[6:7] op_sel:[0,1] op_sel_hi:[1,0] neg_lo:[0,1] neg_hi:[0,1]
	v_pk_add_f32 v[4:5], v[4:5], v[6:7] op_sel:[0,1] op_sel_hi:[1,0]
	v_mov_b32_e32 v6, v8
	v_mov_b32_e32 v7, v5
	;; [unrolled: 1-line block ×3, first 2 shown]
	v_pk_add_f32 v[8:9], v[44:45], v[40:41]
	v_pk_add_f32 v[10:11], v[44:45], v[40:41] neg_lo:[0,1] neg_hi:[0,1]
	v_pk_fma_f32 v[8:9], v[8:9], 0.5, v[12:13] op_sel_hi:[1,0,1] neg_lo:[1,0,0] neg_hi:[1,0,0]
	v_pk_mul_f32 v[10:11], v[10:11], s[0:1] op_sel_hi:[1,0]
	v_pk_add_f32 v[14:15], v[12:13], v[44:45]
	v_pk_add_f32 v[12:13], v[8:9], v[10:11] op_sel:[0,1] op_sel_hi:[1,0] neg_lo:[0,1] neg_hi:[0,1]
	v_pk_add_f32 v[8:9], v[8:9], v[10:11] op_sel:[0,1] op_sel_hi:[1,0]
	v_mov_b32_e32 v37, v17
	v_pk_add_f32 v[16:17], v[2:3], v[42:43]
	v_mov_b32_e32 v10, v12
	v_mov_b32_e32 v11, v9
	;; [unrolled: 1-line block ×3, first 2 shown]
	v_pk_add_f32 v[14:15], v[14:15], v[40:41]
	v_pk_add_f32 v[16:17], v[16:17], v[36:37]
	ds_write2_b64 v85, v[6:7], v[10:11] offset0:91 offset1:104
	ds_write2_b64 v85, v[4:5], v[8:9] offset0:156 offset1:169
	;; [unrolled: 1-line block ×3, first 2 shown]
	v_pk_add_f32 v[4:5], v[42:43], v[36:37]
	v_accvgpr_read_b32 v8, a26
	v_pk_fma_f32 v[2:3], v[4:5], 0.5, v[2:3] op_sel_hi:[1,0,1] neg_lo:[1,0,0] neg_hi:[1,0,0]
	v_pk_add_f32 v[4:5], v[42:43], v[36:37] neg_lo:[0,1] neg_hi:[0,1]
	v_accvgpr_read_b32 v9, a27
	v_pk_mul_f32 v[4:5], v[4:5], s[0:1] op_sel_hi:[1,0]
	v_accvgpr_read_b32 v10, a24
	v_pk_add_f32 v[6:7], v[2:3], v[4:5] op_sel:[0,1] op_sel_hi:[1,0] neg_lo:[0,1] neg_hi:[0,1]
	v_pk_add_f32 v[2:3], v[2:3], v[4:5] op_sel:[0,1] op_sel_hi:[1,0]
	v_mov_b32_e32 v4, v6
	v_mov_b32_e32 v5, v3
	;; [unrolled: 1-line block ×3, first 2 shown]
	v_accvgpr_read_b32 v6, a32
	ds_write2_b64 v6, v[4:5], v[2:3] offset0:65 offset1:130
	s_waitcnt lgkmcnt(0)
	; wave barrier
	s_waitcnt lgkmcnt(0)
	ds_read2_b64 v[2:5], v101 offset1:15
	v_mov_b32_e32 v6, v23
	v_mad_u64_u32 v[6:7], s[0:1], s7, v100, v[6:7]
	v_mov_b32_e32 v23, v6
	s_waitcnt lgkmcnt(0)
	v_mul_f32_e32 v6, v9, v3
	v_fmac_f32_e32 v6, v8, v2
	v_mul_f32_e32 v2, v9, v2
	s_mov_b32 s0, 0x15015015
	v_fma_f32 v2, v8, v3, -v2
	v_cvt_f64_f32_e32 v[6:7], v6
	s_mov_b32 s1, 0x3f750150
	v_cvt_f64_f32_e32 v[2:3], v2
	v_mul_f64 v[6:7], v[6:7], s[0:1]
	v_mul_f64 v[2:3], v[2:3], s[0:1]
	v_cvt_f32_f64_e32 v6, v[6:7]
	v_cvt_f32_f64_e32 v7, v[2:3]
	v_mad_u64_u32 v[2:3], s[2:3], s4, v84, 0
	v_mov_b32_e32 v8, v3
	v_mad_u64_u32 v[8:9], s[2:3], s5, v84, v[8:9]
	v_mov_b32_e32 v3, v8
	v_lshl_add_u64 v[0:1], v[22:23], 3, v[0:1]
	v_accvgpr_read_b32 v11, a25
	v_lshl_add_u64 v[8:9], v[2:3], 3, v[0:1]
	v_mul_f32_e32 v2, v11, v5
	v_fmac_f32_e32 v2, v10, v4
	v_cvt_f64_f32_e32 v[2:3], v2
	v_mul_f64 v[2:3], v[2:3], s[0:1]
	global_store_dwordx2 v[8:9], v[6:7], off
	v_cvt_f32_f64_e32 v6, v[2:3]
	v_mul_f32_e32 v2, v11, v4
	v_fma_f32 v2, v10, v5, -v2
	v_cvt_f64_f32_e32 v[2:3], v2
	v_mul_f64 v[2:3], v[2:3], s[0:1]
	v_cvt_f32_f64_e32 v7, v[2:3]
	ds_read2_b64 v[2:5], v101 offset0:30 offset1:45
	v_mov_b32_e32 v10, 0x78
	v_mad_u64_u32 v[8:9], s[2:3], s4, v10, v[8:9]
	s_mul_i32 s2, s5, 0x78
	v_accvgpr_read_b32 v12, a22
	v_add_u32_e32 v9, s2, v9
	v_accvgpr_read_b32 v13, a23
	global_store_dwordx2 v[8:9], v[6:7], off
	s_waitcnt lgkmcnt(0)
	v_mul_f32_e32 v6, v13, v3
	v_fmac_f32_e32 v6, v12, v2
	v_mul_f32_e32 v2, v13, v2
	v_fma_f32 v2, v12, v3, -v2
	v_cvt_f64_f32_e32 v[6:7], v6
	v_cvt_f64_f32_e32 v[2:3], v2
	v_accvgpr_read_b32 v12, a16
	v_mul_f64 v[6:7], v[6:7], s[0:1]
	v_mul_f64 v[2:3], v[2:3], s[0:1]
	v_accvgpr_read_b32 v13, a17
	v_cvt_f32_f64_e32 v6, v[6:7]
	v_cvt_f32_f64_e32 v7, v[2:3]
	v_mul_f32_e32 v2, v13, v5
	v_fmac_f32_e32 v2, v12, v4
	v_mad_u64_u32 v[8:9], s[6:7], s4, v10, v[8:9]
	v_cvt_f64_f32_e32 v[2:3], v2
	v_add_u32_e32 v9, s2, v9
	v_mul_f64 v[2:3], v[2:3], s[0:1]
	global_store_dwordx2 v[8:9], v[6:7], off
	v_cvt_f32_f64_e32 v6, v[2:3]
	v_mul_f32_e32 v2, v13, v4
	v_fma_f32 v2, v12, v5, -v2
	v_cvt_f64_f32_e32 v[2:3], v2
	v_mul_f64 v[2:3], v[2:3], s[0:1]
	v_cvt_f32_f64_e32 v7, v[2:3]
	ds_read2_b64 v[2:5], v101 offset0:60 offset1:75
	v_mad_u64_u32 v[8:9], s[6:7], s4, v10, v[8:9]
	v_accvgpr_read_b32 v12, a20
	v_add_u32_e32 v9, s2, v9
	v_accvgpr_read_b32 v13, a21
	global_store_dwordx2 v[8:9], v[6:7], off
	s_waitcnt lgkmcnt(0)
	v_mul_f32_e32 v6, v13, v3
	v_fmac_f32_e32 v6, v12, v2
	v_mul_f32_e32 v2, v13, v2
	v_fma_f32 v2, v12, v3, -v2
	v_cvt_f64_f32_e32 v[6:7], v6
	v_cvt_f64_f32_e32 v[2:3], v2
	v_accvgpr_read_b32 v12, a18
	v_mul_f64 v[6:7], v[6:7], s[0:1]
	v_mul_f64 v[2:3], v[2:3], s[0:1]
	v_accvgpr_read_b32 v13, a19
	v_cvt_f32_f64_e32 v6, v[6:7]
	v_cvt_f32_f64_e32 v7, v[2:3]
	v_mul_f32_e32 v2, v13, v5
	v_fmac_f32_e32 v2, v12, v4
	v_mad_u64_u32 v[8:9], s[6:7], s4, v10, v[8:9]
	v_cvt_f64_f32_e32 v[2:3], v2
	v_add_u32_e32 v9, s2, v9
	v_mul_f64 v[2:3], v[2:3], s[0:1]
	global_store_dwordx2 v[8:9], v[6:7], off
	v_cvt_f32_f64_e32 v6, v[2:3]
	v_mul_f32_e32 v2, v13, v4
	v_fma_f32 v2, v12, v5, -v2
	v_cvt_f64_f32_e32 v[2:3], v2
	v_mul_f64 v[2:3], v[2:3], s[0:1]
	v_cvt_f32_f64_e32 v7, v[2:3]
	ds_read2_b64 v[2:5], v101 offset0:90 offset1:105
	v_mad_u64_u32 v[8:9], s[6:7], s4, v10, v[8:9]
	;; [unrolled: 32-line block ×3, first 2 shown]
	v_add_u32_e32 v9, s2, v9
	v_accvgpr_read_b32 v13, a11
	global_store_dwordx2 v[8:9], v[6:7], off
	v_accvgpr_read_b32 v12, a10
	s_waitcnt lgkmcnt(0)
	v_mul_f32_e32 v6, v13, v3
	v_fmac_f32_e32 v6, v12, v2
	v_mul_f32_e32 v2, v13, v2
	v_fma_f32 v2, v12, v3, -v2
	v_cvt_f64_f32_e32 v[6:7], v6
	v_cvt_f64_f32_e32 v[2:3], v2
	v_mul_f64 v[6:7], v[6:7], s[0:1]
	v_mul_f64 v[2:3], v[2:3], s[0:1]
	v_accvgpr_read_b32 v13, a9
	v_cvt_f32_f64_e32 v6, v[6:7]
	v_cvt_f32_f64_e32 v7, v[2:3]
	v_accvgpr_read_b32 v12, a8
	v_mul_f32_e32 v2, v13, v5
	v_fmac_f32_e32 v2, v12, v4
	v_mad_u64_u32 v[8:9], s[6:7], s4, v10, v[8:9]
	v_cvt_f64_f32_e32 v[2:3], v2
	v_add_u32_e32 v9, s2, v9
	v_mul_f64 v[2:3], v[2:3], s[0:1]
	global_store_dwordx2 v[8:9], v[6:7], off
	v_cvt_f32_f64_e32 v6, v[2:3]
	v_mul_f32_e32 v2, v13, v4
	v_fma_f32 v2, v12, v5, -v2
	v_cvt_f64_f32_e32 v[2:3], v2
	v_mul_f64 v[2:3], v[2:3], s[0:1]
	v_cvt_f32_f64_e32 v7, v[2:3]
	ds_read2_b64 v[2:5], v101 offset0:150 offset1:165
	v_mad_u64_u32 v[8:9], s[6:7], s4, v10, v[8:9]
	v_add_u32_e32 v9, s2, v9
	v_accvgpr_read_b32 v13, a7
	global_store_dwordx2 v[8:9], v[6:7], off
	v_accvgpr_read_b32 v12, a6
	s_waitcnt lgkmcnt(0)
	v_mul_f32_e32 v6, v13, v3
	v_fmac_f32_e32 v6, v12, v2
	v_mul_f32_e32 v2, v13, v2
	v_fma_f32 v2, v12, v3, -v2
	v_cvt_f64_f32_e32 v[6:7], v6
	v_cvt_f64_f32_e32 v[2:3], v2
	v_mul_f64 v[6:7], v[6:7], s[0:1]
	v_mul_f64 v[2:3], v[2:3], s[0:1]
	v_cvt_f32_f64_e32 v6, v[6:7]
	v_cvt_f32_f64_e32 v7, v[2:3]
	v_mad_u64_u32 v[2:3], s[6:7], s4, v10, v[8:9]
	v_add_u32_e32 v3, s2, v3
	v_accvgpr_read_b32 v9, a5
	global_store_dwordx2 v[2:3], v[6:7], off
	v_accvgpr_read_b32 v8, a4
	v_mul_f32_e32 v6, v9, v5
	v_fmac_f32_e32 v6, v8, v4
	v_mul_f32_e32 v4, v9, v4
	v_fma_f32 v4, v8, v5, -v4
	v_cvt_f64_f32_e32 v[6:7], v6
	v_cvt_f64_f32_e32 v[4:5], v4
	v_mul_f64 v[6:7], v[6:7], s[0:1]
	v_mul_f64 v[4:5], v[4:5], s[0:1]
	v_cvt_f32_f64_e32 v6, v[6:7]
	v_cvt_f32_f64_e32 v7, v[4:5]
	ds_read_b64 v[4:5], v101 offset:1440
	v_mad_u64_u32 v[2:3], s[6:7], s4, v10, v[2:3]
	v_add_u32_e32 v3, s2, v3
	v_accvgpr_read_b32 v9, a3
	global_store_dwordx2 v[2:3], v[6:7], off
	v_accvgpr_read_b32 v8, a2
	s_waitcnt lgkmcnt(0)
	v_mul_f32_e32 v6, v9, v5
	v_fmac_f32_e32 v6, v8, v4
	v_mul_f32_e32 v4, v9, v4
	v_fma_f32 v4, v8, v5, -v4
	v_cvt_f64_f32_e32 v[6:7], v6
	v_cvt_f64_f32_e32 v[4:5], v4
	v_mul_f64 v[6:7], v[6:7], s[0:1]
	v_mul_f64 v[4:5], v[4:5], s[0:1]
	v_mad_u64_u32 v[2:3], s[6:7], s4, v10, v[2:3]
	v_cvt_f32_f64_e32 v6, v[6:7]
	v_cvt_f32_f64_e32 v7, v[4:5]
	v_add_u32_e32 v3, s2, v3
	global_store_dwordx2 v[2:3], v[6:7], off
	s_and_b64 exec, exec, vcc
	s_cbranch_execz .LBB0_15
; %bb.14:
	global_load_dwordx2 v[4:5], v[86:87], off offset:104
	ds_read_b64 v[6:7], v85 offset:104
	v_mov_b32_e32 v8, 0xfffffac8
	v_mad_u64_u32 v[8:9], s[2:3], s4, v8, v[2:3]
	s_mul_i32 s6, s5, 0xfffffac8
	s_sub_i32 s2, s6, s4
	v_add_u32_e32 v9, s2, v9
	v_accvgpr_read_b32 v13, a1
	v_mad_u64_u32 v[10:11], s[2:3], s4, v13, 0
	v_mov_b32_e32 v12, v11
	v_mad_u64_u32 v[12:13], s[2:3], s5, v13, v[12:13]
	v_mov_b32_e32 v11, v12
	v_lshl_add_u64 v[10:11], v[10:11], 3, v[0:1]
	v_mov_b32_e32 v14, 0xf0
	s_mul_i32 s2, s5, 0xf0
	v_accvgpr_read_b32 v13, a0
	s_waitcnt vmcnt(0) lgkmcnt(0)
	v_mul_f32_e32 v2, v7, v5
	v_mul_f32_e32 v3, v6, v5
	v_fmac_f32_e32 v2, v6, v4
	v_fma_f32 v4, v4, v7, -v3
	v_cvt_f64_f32_e32 v[2:3], v2
	v_cvt_f64_f32_e32 v[4:5], v4
	v_mul_f64 v[2:3], v[2:3], s[0:1]
	v_mul_f64 v[4:5], v[4:5], s[0:1]
	v_cvt_f32_f64_e32 v2, v[2:3]
	v_cvt_f32_f64_e32 v3, v[4:5]
	global_store_dwordx2 v[8:9], v[2:3], off
	global_load_dwordx2 v[6:7], v[86:87], off offset:224
	ds_read2_b64 v[2:5], v101 offset0:28 offset1:43
	s_waitcnt vmcnt(0) lgkmcnt(0)
	v_mul_f32_e32 v12, v3, v7
	v_mul_f32_e32 v7, v2, v7
	v_fmac_f32_e32 v12, v2, v6
	v_fma_f32 v6, v6, v3, -v7
	v_cvt_f64_f32_e32 v[2:3], v12
	v_cvt_f64_f32_e32 v[6:7], v6
	v_mul_f64 v[2:3], v[2:3], s[0:1]
	v_mul_f64 v[6:7], v[6:7], s[0:1]
	v_cvt_f32_f64_e32 v2, v[2:3]
	v_cvt_f32_f64_e32 v3, v[6:7]
	global_store_dwordx2 v[10:11], v[2:3], off
	global_load_dwordx2 v[2:3], v[86:87], off offset:344
	v_mad_u64_u32 v[6:7], s[6:7], s4, v14, v[8:9]
	v_add_u32_e32 v7, s2, v7
	v_mad_u64_u32 v[10:11], s[6:7], s4, v13, 0
	v_mov_b32_e32 v12, v11
	v_mad_u64_u32 v[12:13], s[6:7], s5, v13, v[12:13]
	v_mov_b32_e32 v11, v12
	v_lshl_add_u64 v[10:11], v[10:11], 3, v[0:1]
	v_or_b32_e32 v13, 0x58, v84
	s_waitcnt vmcnt(0)
	v_mul_f32_e32 v8, v5, v3
	v_mul_f32_e32 v3, v4, v3
	v_fmac_f32_e32 v8, v4, v2
	v_fma_f32 v4, v2, v5, -v3
	v_cvt_f64_f32_e32 v[2:3], v8
	v_cvt_f64_f32_e32 v[4:5], v4
	v_mul_f64 v[2:3], v[2:3], s[0:1]
	v_mul_f64 v[4:5], v[4:5], s[0:1]
	v_cvt_f32_f64_e32 v2, v[2:3]
	v_cvt_f32_f64_e32 v3, v[4:5]
	global_store_dwordx2 v[6:7], v[2:3], off
	global_load_dwordx2 v[8:9], v[86:87], off offset:464
	ds_read2_b64 v[2:5], v101 offset0:58 offset1:73
	v_mad_u64_u32 v[6:7], s[6:7], s4, v14, v[6:7]
	v_add_u32_e32 v7, s2, v7
	s_waitcnt vmcnt(0) lgkmcnt(0)
	v_mul_f32_e32 v12, v3, v9
	v_mul_f32_e32 v9, v2, v9
	v_fmac_f32_e32 v12, v2, v8
	v_fma_f32 v8, v8, v3, -v9
	v_cvt_f64_f32_e32 v[2:3], v12
	v_cvt_f64_f32_e32 v[8:9], v8
	v_mul_f64 v[2:3], v[2:3], s[0:1]
	v_mul_f64 v[8:9], v[8:9], s[0:1]
	v_cvt_f32_f64_e32 v2, v[2:3]
	v_cvt_f32_f64_e32 v3, v[8:9]
	global_store_dwordx2 v[10:11], v[2:3], off
	global_load_dwordx2 v[2:3], v[86:87], off offset:584
	v_mad_u64_u32 v[10:11], s[6:7], s4, v13, 0
	v_mov_b32_e32 v12, v11
	v_mad_u64_u32 v[12:13], s[6:7], s5, v13, v[12:13]
	v_mov_b32_e32 v11, v12
	v_lshl_add_u64 v[10:11], v[10:11], 3, v[0:1]
	v_or_b32_e32 v13, 0x76, v84
	s_waitcnt vmcnt(0)
	v_mul_f32_e32 v8, v5, v3
	v_mul_f32_e32 v3, v4, v3
	v_fmac_f32_e32 v8, v4, v2
	v_fma_f32 v4, v2, v5, -v3
	v_cvt_f64_f32_e32 v[2:3], v8
	v_cvt_f64_f32_e32 v[4:5], v4
	v_mul_f64 v[2:3], v[2:3], s[0:1]
	v_mul_f64 v[4:5], v[4:5], s[0:1]
	v_cvt_f32_f64_e32 v2, v[2:3]
	v_cvt_f32_f64_e32 v3, v[4:5]
	global_store_dwordx2 v[6:7], v[2:3], off
	global_load_dwordx2 v[8:9], v[86:87], off offset:704
	ds_read2_b64 v[2:5], v101 offset0:88 offset1:103
	v_mad_u64_u32 v[6:7], s[6:7], s4, v14, v[6:7]
	v_add_u32_e32 v7, s2, v7
	s_waitcnt vmcnt(0) lgkmcnt(0)
	v_mul_f32_e32 v12, v3, v9
	v_mul_f32_e32 v9, v2, v9
	v_fmac_f32_e32 v12, v2, v8
	v_fma_f32 v8, v8, v3, -v9
	v_cvt_f64_f32_e32 v[2:3], v12
	v_cvt_f64_f32_e32 v[8:9], v8
	v_mul_f64 v[2:3], v[2:3], s[0:1]
	v_mul_f64 v[8:9], v[8:9], s[0:1]
	v_cvt_f32_f64_e32 v2, v[2:3]
	v_cvt_f32_f64_e32 v3, v[8:9]
	global_store_dwordx2 v[10:11], v[2:3], off
	global_load_dwordx2 v[2:3], v[86:87], off offset:824
	v_mad_u64_u32 v[10:11], s[6:7], s4, v13, 0
	v_mov_b32_e32 v12, v11
	v_mad_u64_u32 v[12:13], s[6:7], s5, v13, v[12:13]
	v_mov_b32_e32 v11, v12
	v_lshl_add_u64 v[10:11], v[10:11], 3, v[0:1]
	v_or_b32_e32 v13, 0x94, v84
	s_waitcnt vmcnt(0)
	v_mul_f32_e32 v8, v5, v3
	v_mul_f32_e32 v3, v4, v3
	v_fmac_f32_e32 v8, v4, v2
	v_fma_f32 v4, v2, v5, -v3
	v_cvt_f64_f32_e32 v[2:3], v8
	v_cvt_f64_f32_e32 v[4:5], v4
	v_mul_f64 v[2:3], v[2:3], s[0:1]
	v_mul_f64 v[4:5], v[4:5], s[0:1]
	v_cvt_f32_f64_e32 v2, v[2:3]
	v_cvt_f32_f64_e32 v3, v[4:5]
	global_store_dwordx2 v[6:7], v[2:3], off
	global_load_dwordx2 v[8:9], v[86:87], off offset:944
	ds_read2_b64 v[2:5], v101 offset0:118 offset1:133
	v_mad_u64_u32 v[6:7], s[6:7], s4, v14, v[6:7]
	v_add_u32_e32 v7, s2, v7
	s_waitcnt vmcnt(0) lgkmcnt(0)
	v_mul_f32_e32 v12, v3, v9
	v_mul_f32_e32 v9, v2, v9
	v_fmac_f32_e32 v12, v2, v8
	v_fma_f32 v8, v8, v3, -v9
	v_cvt_f64_f32_e32 v[2:3], v12
	v_cvt_f64_f32_e32 v[8:9], v8
	v_mul_f64 v[2:3], v[2:3], s[0:1]
	v_mul_f64 v[8:9], v[8:9], s[0:1]
	v_cvt_f32_f64_e32 v2, v[2:3]
	v_cvt_f32_f64_e32 v3, v[8:9]
	global_store_dwordx2 v[10:11], v[2:3], off
	global_load_dwordx2 v[2:3], v[86:87], off offset:1064
	v_mad_u64_u32 v[10:11], s[6:7], s4, v13, 0
	v_mov_b32_e32 v12, v11
	v_mad_u64_u32 v[12:13], s[6:7], s5, v13, v[12:13]
	v_mov_b32_e32 v11, v12
	v_lshl_add_u64 v[10:11], v[10:11], 3, v[0:1]
	v_or_b32_e32 v13, 0xb2, v84
	s_waitcnt vmcnt(0)
	v_mul_f32_e32 v8, v5, v3
	v_mul_f32_e32 v3, v4, v3
	v_fmac_f32_e32 v8, v4, v2
	v_fma_f32 v4, v2, v5, -v3
	v_cvt_f64_f32_e32 v[2:3], v8
	v_cvt_f64_f32_e32 v[4:5], v4
	v_mul_f64 v[2:3], v[2:3], s[0:1]
	v_mul_f64 v[4:5], v[4:5], s[0:1]
	v_cvt_f32_f64_e32 v2, v[2:3]
	v_cvt_f32_f64_e32 v3, v[4:5]
	global_store_dwordx2 v[6:7], v[2:3], off
	global_load_dwordx2 v[8:9], v[86:87], off offset:1184
	ds_read2_b64 v[2:5], v101 offset0:148 offset1:163
	v_mad_u64_u32 v[6:7], s[6:7], s4, v14, v[6:7]
	v_add_u32_e32 v7, s2, v7
	s_waitcnt vmcnt(0) lgkmcnt(0)
	v_mul_f32_e32 v12, v3, v9
	v_mul_f32_e32 v9, v2, v9
	v_fmac_f32_e32 v12, v2, v8
	v_fma_f32 v8, v8, v3, -v9
	v_cvt_f64_f32_e32 v[2:3], v12
	v_cvt_f64_f32_e32 v[8:9], v8
	v_mul_f64 v[2:3], v[2:3], s[0:1]
	v_mul_f64 v[8:9], v[8:9], s[0:1]
	v_cvt_f32_f64_e32 v2, v[2:3]
	v_cvt_f32_f64_e32 v3, v[8:9]
	global_store_dwordx2 v[10:11], v[2:3], off
	global_load_dwordx2 v[2:3], v[86:87], off offset:1304
	v_mad_u64_u32 v[10:11], s[6:7], s4, v13, 0
	v_mov_b32_e32 v12, v11
	v_mad_u64_u32 v[12:13], s[6:7], s5, v13, v[12:13]
	v_mov_b32_e32 v11, v12
	v_lshl_add_u64 v[0:1], v[10:11], 3, v[0:1]
	s_waitcnt vmcnt(0)
	v_mul_f32_e32 v8, v5, v3
	v_mul_f32_e32 v3, v4, v3
	v_fmac_f32_e32 v8, v4, v2
	v_fma_f32 v4, v2, v5, -v3
	v_cvt_f64_f32_e32 v[2:3], v8
	v_cvt_f64_f32_e32 v[4:5], v4
	v_mul_f64 v[2:3], v[2:3], s[0:1]
	v_mul_f64 v[4:5], v[4:5], s[0:1]
	v_cvt_f32_f64_e32 v2, v[2:3]
	v_cvt_f32_f64_e32 v3, v[4:5]
	global_store_dwordx2 v[6:7], v[2:3], off
	global_load_dwordx2 v[8:9], v[86:87], off offset:1424
	ds_read2_b64 v[2:5], v101 offset0:178 offset1:193
	s_waitcnt vmcnt(0) lgkmcnt(0)
	v_mul_f32_e32 v10, v3, v9
	v_mul_f32_e32 v9, v2, v9
	v_fmac_f32_e32 v10, v2, v8
	v_fma_f32 v8, v8, v3, -v9
	v_cvt_f64_f32_e32 v[2:3], v10
	v_cvt_f64_f32_e32 v[8:9], v8
	v_mul_f64 v[2:3], v[2:3], s[0:1]
	v_mul_f64 v[8:9], v[8:9], s[0:1]
	v_cvt_f32_f64_e32 v2, v[2:3]
	v_cvt_f32_f64_e32 v3, v[8:9]
	global_store_dwordx2 v[0:1], v[2:3], off
	global_load_dwordx2 v[0:1], v[86:87], off offset:1544
	v_mad_u64_u32 v[2:3], s[4:5], s4, v14, v[6:7]
	v_add_u32_e32 v3, s2, v3
	s_waitcnt vmcnt(0)
	v_mul_f32_e32 v6, v5, v1
	v_mul_f32_e32 v1, v4, v1
	v_fmac_f32_e32 v6, v4, v0
	v_fma_f32 v4, v0, v5, -v1
	v_cvt_f64_f32_e32 v[0:1], v6
	v_cvt_f64_f32_e32 v[4:5], v4
	v_mul_f64 v[0:1], v[0:1], s[0:1]
	v_mul_f64 v[4:5], v[4:5], s[0:1]
	v_cvt_f32_f64_e32 v0, v[0:1]
	v_cvt_f32_f64_e32 v1, v[4:5]
	global_store_dwordx2 v[2:3], v[0:1], off
.LBB0_15:
	s_endpgm
	.section	.rodata,"a",@progbits
	.p2align	6, 0x0
	.amdhsa_kernel bluestein_single_fwd_len195_dim1_sp_op_CI_CI
		.amdhsa_group_segment_fixed_size 6240
		.amdhsa_private_segment_fixed_size 0
		.amdhsa_kernarg_size 104
		.amdhsa_user_sgpr_count 2
		.amdhsa_user_sgpr_dispatch_ptr 0
		.amdhsa_user_sgpr_queue_ptr 0
		.amdhsa_user_sgpr_kernarg_segment_ptr 1
		.amdhsa_user_sgpr_dispatch_id 0
		.amdhsa_user_sgpr_kernarg_preload_length 0
		.amdhsa_user_sgpr_kernarg_preload_offset 0
		.amdhsa_user_sgpr_private_segment_size 0
		.amdhsa_uses_dynamic_stack 0
		.amdhsa_enable_private_segment 0
		.amdhsa_system_sgpr_workgroup_id_x 1
		.amdhsa_system_sgpr_workgroup_id_y 0
		.amdhsa_system_sgpr_workgroup_id_z 0
		.amdhsa_system_sgpr_workgroup_info 0
		.amdhsa_system_vgpr_workitem_id 0
		.amdhsa_next_free_vgpr 289
		.amdhsa_next_free_sgpr 54
		.amdhsa_accum_offset 256
		.amdhsa_reserve_vcc 1
		.amdhsa_float_round_mode_32 0
		.amdhsa_float_round_mode_16_64 0
		.amdhsa_float_denorm_mode_32 3
		.amdhsa_float_denorm_mode_16_64 3
		.amdhsa_dx10_clamp 1
		.amdhsa_ieee_mode 1
		.amdhsa_fp16_overflow 0
		.amdhsa_tg_split 0
		.amdhsa_exception_fp_ieee_invalid_op 0
		.amdhsa_exception_fp_denorm_src 0
		.amdhsa_exception_fp_ieee_div_zero 0
		.amdhsa_exception_fp_ieee_overflow 0
		.amdhsa_exception_fp_ieee_underflow 0
		.amdhsa_exception_fp_ieee_inexact 0
		.amdhsa_exception_int_div_zero 0
	.end_amdhsa_kernel
	.text
.Lfunc_end0:
	.size	bluestein_single_fwd_len195_dim1_sp_op_CI_CI, .Lfunc_end0-bluestein_single_fwd_len195_dim1_sp_op_CI_CI
                                        ; -- End function
	.section	.AMDGPU.csdata,"",@progbits
; Kernel info:
; codeLenInByte = 20200
; NumSgprs: 60
; NumVgprs: 256
; NumAgprs: 33
; TotalNumVgprs: 289
; ScratchSize: 0
; MemoryBound: 0
; FloatMode: 240
; IeeeMode: 1
; LDSByteSize: 6240 bytes/workgroup (compile time only)
; SGPRBlocks: 7
; VGPRBlocks: 36
; NumSGPRsForWavesPerEU: 60
; NumVGPRsForWavesPerEU: 289
; AccumOffset: 256
; Occupancy: 1
; WaveLimiterHint : 1
; COMPUTE_PGM_RSRC2:SCRATCH_EN: 0
; COMPUTE_PGM_RSRC2:USER_SGPR: 2
; COMPUTE_PGM_RSRC2:TRAP_HANDLER: 0
; COMPUTE_PGM_RSRC2:TGID_X_EN: 1
; COMPUTE_PGM_RSRC2:TGID_Y_EN: 0
; COMPUTE_PGM_RSRC2:TGID_Z_EN: 0
; COMPUTE_PGM_RSRC2:TIDIG_COMP_CNT: 0
; COMPUTE_PGM_RSRC3_GFX90A:ACCUM_OFFSET: 63
; COMPUTE_PGM_RSRC3_GFX90A:TG_SPLIT: 0
	.text
	.p2alignl 6, 3212836864
	.fill 256, 4, 3212836864
	.type	__hip_cuid_721b16c511eb02b,@object ; @__hip_cuid_721b16c511eb02b
	.section	.bss,"aw",@nobits
	.globl	__hip_cuid_721b16c511eb02b
__hip_cuid_721b16c511eb02b:
	.byte	0                               ; 0x0
	.size	__hip_cuid_721b16c511eb02b, 1

	.ident	"AMD clang version 19.0.0git (https://github.com/RadeonOpenCompute/llvm-project roc-6.4.0 25133 c7fe45cf4b819c5991fe208aaa96edf142730f1d)"
	.section	".note.GNU-stack","",@progbits
	.addrsig
	.addrsig_sym __hip_cuid_721b16c511eb02b
	.amdgpu_metadata
---
amdhsa.kernels:
  - .agpr_count:     33
    .args:
      - .actual_access:  read_only
        .address_space:  global
        .offset:         0
        .size:           8
        .value_kind:     global_buffer
      - .actual_access:  read_only
        .address_space:  global
        .offset:         8
        .size:           8
        .value_kind:     global_buffer
      - .actual_access:  read_only
        .address_space:  global
        .offset:         16
        .size:           8
        .value_kind:     global_buffer
      - .actual_access:  read_only
        .address_space:  global
        .offset:         24
        .size:           8
        .value_kind:     global_buffer
      - .actual_access:  read_only
        .address_space:  global
        .offset:         32
        .size:           8
        .value_kind:     global_buffer
      - .offset:         40
        .size:           8
        .value_kind:     by_value
      - .address_space:  global
        .offset:         48
        .size:           8
        .value_kind:     global_buffer
      - .address_space:  global
        .offset:         56
        .size:           8
        .value_kind:     global_buffer
      - .address_space:  global
        .offset:         64
        .size:           8
        .value_kind:     global_buffer
      - .address_space:  global
        .offset:         72
        .size:           8
        .value_kind:     global_buffer
      - .offset:         80
        .size:           4
        .value_kind:     by_value
      - .address_space:  global
        .offset:         88
        .size:           8
        .value_kind:     global_buffer
      - .address_space:  global
        .offset:         96
        .size:           8
        .value_kind:     global_buffer
    .group_segment_fixed_size: 6240
    .kernarg_segment_align: 8
    .kernarg_segment_size: 104
    .language:       OpenCL C
    .language_version:
      - 2
      - 0
    .max_flat_workgroup_size: 52
    .name:           bluestein_single_fwd_len195_dim1_sp_op_CI_CI
    .private_segment_fixed_size: 0
    .sgpr_count:     60
    .sgpr_spill_count: 0
    .symbol:         bluestein_single_fwd_len195_dim1_sp_op_CI_CI.kd
    .uniform_work_group_size: 1
    .uses_dynamic_stack: false
    .vgpr_count:     289
    .vgpr_spill_count: 0
    .wavefront_size: 64
amdhsa.target:   amdgcn-amd-amdhsa--gfx950
amdhsa.version:
  - 1
  - 2
...

	.end_amdgpu_metadata
